;; amdgpu-corpus repo=ROCm/rocFFT kind=compiled arch=gfx1201 opt=O3
	.text
	.amdgcn_target "amdgcn-amd-amdhsa--gfx1201"
	.amdhsa_code_object_version 6
	.protected	fft_rtc_fwd_len3840_factors_10_6_2_2_2_2_2_2_wgs_128_tpt_128_halfLds_sp_ip_CI_unitstride_sbrr_R2C_dirReg ; -- Begin function fft_rtc_fwd_len3840_factors_10_6_2_2_2_2_2_2_wgs_128_tpt_128_halfLds_sp_ip_CI_unitstride_sbrr_R2C_dirReg
	.globl	fft_rtc_fwd_len3840_factors_10_6_2_2_2_2_2_2_wgs_128_tpt_128_halfLds_sp_ip_CI_unitstride_sbrr_R2C_dirReg
	.p2align	8
	.type	fft_rtc_fwd_len3840_factors_10_6_2_2_2_2_2_2_wgs_128_tpt_128_halfLds_sp_ip_CI_unitstride_sbrr_R2C_dirReg,@function
fft_rtc_fwd_len3840_factors_10_6_2_2_2_2_2_2_wgs_128_tpt_128_halfLds_sp_ip_CI_unitstride_sbrr_R2C_dirReg: ; @fft_rtc_fwd_len3840_factors_10_6_2_2_2_2_2_2_wgs_128_tpt_128_halfLds_sp_ip_CI_unitstride_sbrr_R2C_dirReg
; %bb.0:
	s_clause 0x2
	s_load_b128 s[4:7], s[0:1], 0x0
	s_load_b64 s[8:9], s[0:1], 0x50
	s_load_b64 s[10:11], s[0:1], 0x18
	v_mov_b32_e32 v3, 0
	v_mov_b32_e32 v1, 0
	v_dual_mov_b32 v2, 0 :: v_dual_mov_b32 v5, ttmp9
	s_mov_b32 s3, 0
	s_delay_alu instid0(VALU_DEP_3) | instskip(SKIP_2) | instid1(VALU_DEP_1)
	v_mov_b32_e32 v6, v3
	s_wait_kmcnt 0x0
	v_cmp_lt_u64_e64 s2, s[6:7], 2
	s_and_b32 vcc_lo, exec_lo, s2
	s_cbranch_vccnz .LBB0_8
; %bb.1:
	s_load_b64 s[14:15], s[0:1], 0x10
	v_mov_b32_e32 v1, 0
	v_mov_b32_e32 v2, 0
	s_add_nc_u64 s[12:13], s[10:11], 8
	s_mov_b64 s[16:17], 1
	s_wait_kmcnt 0x0
	s_add_nc_u64 s[14:15], s[14:15], 8
.LBB0_2:                                ; =>This Inner Loop Header: Depth=1
	s_load_b64 s[18:19], s[14:15], 0x0
                                        ; implicit-def: $vgpr7_vgpr8
	s_mov_b32 s2, exec_lo
	s_wait_kmcnt 0x0
	v_or_b32_e32 v4, s19, v6
	s_delay_alu instid0(VALU_DEP_1)
	v_cmpx_ne_u64_e32 0, v[3:4]
	s_wait_alu 0xfffe
	s_xor_b32 s20, exec_lo, s2
	s_cbranch_execz .LBB0_4
; %bb.3:                                ;   in Loop: Header=BB0_2 Depth=1
	s_cvt_f32_u32 s2, s18
	s_cvt_f32_u32 s21, s19
	s_sub_nc_u64 s[24:25], 0, s[18:19]
	s_wait_alu 0xfffe
	s_delay_alu instid0(SALU_CYCLE_1) | instskip(SKIP_1) | instid1(SALU_CYCLE_2)
	s_fmamk_f32 s2, s21, 0x4f800000, s2
	s_wait_alu 0xfffe
	v_s_rcp_f32 s2, s2
	s_delay_alu instid0(TRANS32_DEP_1) | instskip(SKIP_1) | instid1(SALU_CYCLE_2)
	s_mul_f32 s2, s2, 0x5f7ffffc
	s_wait_alu 0xfffe
	s_mul_f32 s21, s2, 0x2f800000
	s_wait_alu 0xfffe
	s_delay_alu instid0(SALU_CYCLE_2) | instskip(SKIP_1) | instid1(SALU_CYCLE_2)
	s_trunc_f32 s21, s21
	s_wait_alu 0xfffe
	s_fmamk_f32 s2, s21, 0xcf800000, s2
	s_cvt_u32_f32 s23, s21
	s_wait_alu 0xfffe
	s_delay_alu instid0(SALU_CYCLE_1) | instskip(SKIP_1) | instid1(SALU_CYCLE_2)
	s_cvt_u32_f32 s22, s2
	s_wait_alu 0xfffe
	s_mul_u64 s[26:27], s[24:25], s[22:23]
	s_wait_alu 0xfffe
	s_mul_hi_u32 s29, s22, s27
	s_mul_i32 s28, s22, s27
	s_mul_hi_u32 s2, s22, s26
	s_mul_i32 s30, s23, s26
	s_wait_alu 0xfffe
	s_add_nc_u64 s[28:29], s[2:3], s[28:29]
	s_mul_hi_u32 s21, s23, s26
	s_mul_hi_u32 s31, s23, s27
	s_add_co_u32 s2, s28, s30
	s_wait_alu 0xfffe
	s_add_co_ci_u32 s2, s29, s21
	s_mul_i32 s26, s23, s27
	s_add_co_ci_u32 s27, s31, 0
	s_wait_alu 0xfffe
	s_add_nc_u64 s[26:27], s[2:3], s[26:27]
	s_wait_alu 0xfffe
	v_add_co_u32 v4, s2, s22, s26
	s_delay_alu instid0(VALU_DEP_1) | instskip(SKIP_1) | instid1(VALU_DEP_1)
	s_cmp_lg_u32 s2, 0
	s_add_co_ci_u32 s23, s23, s27
	v_readfirstlane_b32 s22, v4
	s_wait_alu 0xfffe
	s_delay_alu instid0(VALU_DEP_1)
	s_mul_u64 s[24:25], s[24:25], s[22:23]
	s_wait_alu 0xfffe
	s_mul_hi_u32 s27, s22, s25
	s_mul_i32 s26, s22, s25
	s_mul_hi_u32 s2, s22, s24
	s_mul_i32 s28, s23, s24
	s_wait_alu 0xfffe
	s_add_nc_u64 s[26:27], s[2:3], s[26:27]
	s_mul_hi_u32 s21, s23, s24
	s_mul_hi_u32 s22, s23, s25
	s_wait_alu 0xfffe
	s_add_co_u32 s2, s26, s28
	s_add_co_ci_u32 s2, s27, s21
	s_mul_i32 s24, s23, s25
	s_add_co_ci_u32 s25, s22, 0
	s_wait_alu 0xfffe
	s_add_nc_u64 s[24:25], s[2:3], s[24:25]
	s_wait_alu 0xfffe
	v_add_co_u32 v4, s2, v4, s24
	s_delay_alu instid0(VALU_DEP_1) | instskip(SKIP_1) | instid1(VALU_DEP_1)
	s_cmp_lg_u32 s2, 0
	s_add_co_ci_u32 s2, s23, s25
	v_mul_hi_u32 v13, v5, v4
	s_wait_alu 0xfffe
	v_mad_co_u64_u32 v[7:8], null, v5, s2, 0
	v_mad_co_u64_u32 v[9:10], null, v6, v4, 0
	;; [unrolled: 1-line block ×3, first 2 shown]
	s_delay_alu instid0(VALU_DEP_3) | instskip(SKIP_1) | instid1(VALU_DEP_4)
	v_add_co_u32 v4, vcc_lo, v13, v7
	s_wait_alu 0xfffd
	v_add_co_ci_u32_e32 v7, vcc_lo, 0, v8, vcc_lo
	s_delay_alu instid0(VALU_DEP_2) | instskip(SKIP_1) | instid1(VALU_DEP_2)
	v_add_co_u32 v4, vcc_lo, v4, v9
	s_wait_alu 0xfffd
	v_add_co_ci_u32_e32 v4, vcc_lo, v7, v10, vcc_lo
	s_wait_alu 0xfffd
	v_add_co_ci_u32_e32 v7, vcc_lo, 0, v12, vcc_lo
	s_delay_alu instid0(VALU_DEP_2) | instskip(SKIP_1) | instid1(VALU_DEP_2)
	v_add_co_u32 v4, vcc_lo, v4, v11
	s_wait_alu 0xfffd
	v_add_co_ci_u32_e32 v9, vcc_lo, 0, v7, vcc_lo
	s_delay_alu instid0(VALU_DEP_2) | instskip(SKIP_1) | instid1(VALU_DEP_3)
	v_mul_lo_u32 v10, s19, v4
	v_mad_co_u64_u32 v[7:8], null, s18, v4, 0
	v_mul_lo_u32 v11, s18, v9
	s_delay_alu instid0(VALU_DEP_2) | instskip(NEXT) | instid1(VALU_DEP_2)
	v_sub_co_u32 v7, vcc_lo, v5, v7
	v_add3_u32 v8, v8, v11, v10
	s_delay_alu instid0(VALU_DEP_1) | instskip(SKIP_1) | instid1(VALU_DEP_1)
	v_sub_nc_u32_e32 v10, v6, v8
	s_wait_alu 0xfffd
	v_subrev_co_ci_u32_e64 v10, s2, s19, v10, vcc_lo
	v_add_co_u32 v11, s2, v4, 2
	s_wait_alu 0xf1ff
	v_add_co_ci_u32_e64 v12, s2, 0, v9, s2
	v_sub_co_u32 v13, s2, v7, s18
	v_sub_co_ci_u32_e32 v8, vcc_lo, v6, v8, vcc_lo
	s_wait_alu 0xf1ff
	v_subrev_co_ci_u32_e64 v10, s2, 0, v10, s2
	s_delay_alu instid0(VALU_DEP_3) | instskip(NEXT) | instid1(VALU_DEP_3)
	v_cmp_le_u32_e32 vcc_lo, s18, v13
	v_cmp_eq_u32_e64 s2, s19, v8
	s_wait_alu 0xfffd
	v_cndmask_b32_e64 v13, 0, -1, vcc_lo
	v_cmp_le_u32_e32 vcc_lo, s19, v10
	s_wait_alu 0xfffd
	v_cndmask_b32_e64 v14, 0, -1, vcc_lo
	v_cmp_le_u32_e32 vcc_lo, s18, v7
	;; [unrolled: 3-line block ×3, first 2 shown]
	s_wait_alu 0xfffd
	v_cndmask_b32_e64 v15, 0, -1, vcc_lo
	v_cmp_eq_u32_e32 vcc_lo, s19, v10
	s_wait_alu 0xf1ff
	s_delay_alu instid0(VALU_DEP_2)
	v_cndmask_b32_e64 v7, v15, v7, s2
	s_wait_alu 0xfffd
	v_cndmask_b32_e32 v10, v14, v13, vcc_lo
	v_add_co_u32 v13, vcc_lo, v4, 1
	s_wait_alu 0xfffd
	v_add_co_ci_u32_e32 v14, vcc_lo, 0, v9, vcc_lo
	s_delay_alu instid0(VALU_DEP_3) | instskip(SKIP_2) | instid1(VALU_DEP_3)
	v_cmp_ne_u32_e32 vcc_lo, 0, v10
	s_wait_alu 0xfffd
	v_cndmask_b32_e32 v10, v13, v11, vcc_lo
	v_cndmask_b32_e32 v8, v14, v12, vcc_lo
	v_cmp_ne_u32_e32 vcc_lo, 0, v7
	s_wait_alu 0xfffd
	s_delay_alu instid0(VALU_DEP_2)
	v_dual_cndmask_b32 v7, v4, v10 :: v_dual_cndmask_b32 v8, v9, v8
.LBB0_4:                                ;   in Loop: Header=BB0_2 Depth=1
	s_wait_alu 0xfffe
	s_and_not1_saveexec_b32 s2, s20
	s_cbranch_execz .LBB0_6
; %bb.5:                                ;   in Loop: Header=BB0_2 Depth=1
	v_cvt_f32_u32_e32 v4, s18
	s_sub_co_i32 s20, 0, s18
	s_delay_alu instid0(VALU_DEP_1) | instskip(NEXT) | instid1(TRANS32_DEP_1)
	v_rcp_iflag_f32_e32 v4, v4
	v_mul_f32_e32 v4, 0x4f7ffffe, v4
	s_delay_alu instid0(VALU_DEP_1) | instskip(SKIP_1) | instid1(VALU_DEP_1)
	v_cvt_u32_f32_e32 v4, v4
	s_wait_alu 0xfffe
	v_mul_lo_u32 v7, s20, v4
	s_delay_alu instid0(VALU_DEP_1) | instskip(NEXT) | instid1(VALU_DEP_1)
	v_mul_hi_u32 v7, v4, v7
	v_add_nc_u32_e32 v4, v4, v7
	s_delay_alu instid0(VALU_DEP_1) | instskip(NEXT) | instid1(VALU_DEP_1)
	v_mul_hi_u32 v4, v5, v4
	v_mul_lo_u32 v7, v4, s18
	v_add_nc_u32_e32 v8, 1, v4
	s_delay_alu instid0(VALU_DEP_2) | instskip(NEXT) | instid1(VALU_DEP_1)
	v_sub_nc_u32_e32 v7, v5, v7
	v_subrev_nc_u32_e32 v9, s18, v7
	v_cmp_le_u32_e32 vcc_lo, s18, v7
	s_wait_alu 0xfffd
	s_delay_alu instid0(VALU_DEP_2) | instskip(NEXT) | instid1(VALU_DEP_1)
	v_dual_cndmask_b32 v7, v7, v9 :: v_dual_cndmask_b32 v4, v4, v8
	v_cmp_le_u32_e32 vcc_lo, s18, v7
	s_delay_alu instid0(VALU_DEP_2) | instskip(SKIP_1) | instid1(VALU_DEP_1)
	v_add_nc_u32_e32 v8, 1, v4
	s_wait_alu 0xfffd
	v_dual_cndmask_b32 v7, v4, v8 :: v_dual_mov_b32 v8, v3
.LBB0_6:                                ;   in Loop: Header=BB0_2 Depth=1
	s_wait_alu 0xfffe
	s_or_b32 exec_lo, exec_lo, s2
	s_load_b64 s[20:21], s[12:13], 0x0
	s_delay_alu instid0(VALU_DEP_1)
	v_mul_lo_u32 v4, v8, s18
	v_mul_lo_u32 v11, v7, s19
	v_mad_co_u64_u32 v[9:10], null, v7, s18, 0
	s_add_nc_u64 s[16:17], s[16:17], 1
	s_add_nc_u64 s[12:13], s[12:13], 8
	s_wait_alu 0xfffe
	v_cmp_ge_u64_e64 s2, s[16:17], s[6:7]
	s_add_nc_u64 s[14:15], s[14:15], 8
	s_delay_alu instid0(VALU_DEP_2) | instskip(NEXT) | instid1(VALU_DEP_3)
	v_add3_u32 v4, v10, v11, v4
	v_sub_co_u32 v5, vcc_lo, v5, v9
	s_wait_alu 0xfffd
	s_delay_alu instid0(VALU_DEP_2) | instskip(SKIP_3) | instid1(VALU_DEP_2)
	v_sub_co_ci_u32_e32 v4, vcc_lo, v6, v4, vcc_lo
	s_and_b32 vcc_lo, exec_lo, s2
	s_wait_kmcnt 0x0
	v_mul_lo_u32 v6, s21, v5
	v_mul_lo_u32 v4, s20, v4
	v_mad_co_u64_u32 v[1:2], null, s20, v5, v[1:2]
	s_delay_alu instid0(VALU_DEP_1)
	v_add3_u32 v2, v6, v2, v4
	s_wait_alu 0xfffe
	s_cbranch_vccnz .LBB0_9
; %bb.7:                                ;   in Loop: Header=BB0_2 Depth=1
	v_dual_mov_b32 v5, v7 :: v_dual_mov_b32 v6, v8
	s_branch .LBB0_2
.LBB0_8:
	v_dual_mov_b32 v8, v6 :: v_dual_mov_b32 v7, v5
.LBB0_9:
	s_lshl_b64 s[2:3], s[6:7], 3
	v_or_b32_e32 v20, 0x80, v0
	s_wait_alu 0xfffe
	s_add_nc_u64 s[2:3], s[10:11], s[2:3]
	v_or_b32_e32 v22, 0x100, v0
	s_load_b64 s[2:3], s[2:3], 0x0
	s_load_b64 s[0:1], s[0:1], 0x20
	v_or_b32_e32 v42, 0x280, v0
	v_or_b32_e32 v30, 0x500, v0
	;; [unrolled: 1-line block ×12, first 2 shown]
	s_wait_kmcnt 0x0
	v_mul_lo_u32 v4, s2, v8
	v_mul_lo_u32 v5, s3, v7
	v_mad_co_u64_u32 v[2:3], null, s2, v7, v[1:2]
	v_cmp_gt_u64_e32 vcc_lo, s[0:1], v[7:8]
	v_cmp_le_u64_e64 s0, s[0:1], v[7:8]
	s_delay_alu instid0(VALU_DEP_3) | instskip(NEXT) | instid1(VALU_DEP_2)
	v_add3_u32 v3, v5, v3, v4
	s_and_saveexec_b32 s1, s0
	s_wait_alu 0xfffe
	s_xor_b32 s0, exec_lo, s1
	s_cbranch_execz .LBB0_11
; %bb.10:
	v_mov_b32_e32 v1, 0
	v_or_b32_e32 v20, 0x80, v0
	v_or_b32_e32 v22, 0x100, v0
	v_or_b32_e32 v42, 0x280, v0
	v_or_b32_e32 v30, 0x500, v0
	v_or_b32_e32 v46, 0x180, v0
	v_or_b32_e32 v44, 0x200, v0
	v_or_b32_e32 v40, 0x300, v0
	v_or_b32_e32 v38, 0x380, v0
	v_or_b32_e32 v36, 0x400, v0
	v_or_b32_e32 v34, 0x480, v0
	v_or_b32_e32 v32, 0x580, v0
	v_or_b32_e32 v28, 0x600, v0
	v_or_b32_e32 v26, 0x680, v0
	v_or_b32_e32 v24, 0x700, v0
	v_mov_b32_e32 v21, v1
	v_mov_b32_e32 v23, v1
	;; [unrolled: 1-line block ×14, first 2 shown]
.LBB0_11:
	s_wait_alu 0xfffe
	s_or_saveexec_b32 s1, s0
	v_lshlrev_b64_e32 v[18:19], 3, v[2:3]
	v_lshlrev_b32_e32 v48, 3, v0
	s_wait_alu 0xfffe
	s_xor_b32 exec_lo, exec_lo, s1
	s_cbranch_execz .LBB0_13
; %bb.12:
	s_delay_alu instid0(VALU_DEP_2) | instskip(SKIP_3) | instid1(VALU_DEP_3)
	v_add_co_u32 v17, s0, s8, v18
	s_wait_alu 0xf1ff
	v_add_co_ci_u32_e64 v21, s0, s9, v19, s0
	v_lshlrev_b32_e32 v25, 3, v38
	v_add_co_u32 v1, s0, v17, v48
	v_or_b32_e32 v95, 0x3c00, v48
	s_wait_alu 0xf1ff
	v_add_co_ci_u32_e64 v2, s0, 0, v21, s0
	v_add_co_u32 v11, s0, v17, v25
	v_or_b32_e32 v96, 0x5c00, v48
	s_wait_alu 0xf1ff
	v_add_co_ci_u32_e64 v12, s0, 0, v21, s0
	v_add_co_u32 v61, s0, v17, v95
	s_wait_alu 0xf1ff
	v_add_co_ci_u32_e64 v62, s0, 0, v21, s0
	v_add_co_u32 v71, s0, v17, v96
	s_wait_alu 0xf1ff
	v_add_co_ci_u32_e64 v72, s0, 0, v21, s0
	s_clause 0x1d
	global_load_b64 v[3:4], v[1:2], off
	global_load_b64 v[5:6], v[1:2], off offset:1024
	global_load_b64 v[7:8], v[1:2], off offset:2048
	global_load_b64 v[9:10], v[1:2], off offset:3072
	global_load_b64 v[13:14], v[1:2], off offset:4096
	global_load_b64 v[15:16], v[1:2], off offset:5120
	global_load_b64 v[49:50], v[1:2], off offset:6144
	global_load_b64 v[51:52], v[1:2], off offset:8192
	global_load_b64 v[53:54], v[1:2], off offset:9216
	global_load_b64 v[55:56], v[1:2], off offset:10240
	global_load_b64 v[57:58], v[1:2], off offset:11264
	global_load_b64 v[59:60], v[1:2], off offset:12288
	global_load_b64 v[63:64], v[1:2], off offset:13312
	global_load_b64 v[65:66], v[1:2], off offset:14336
	global_load_b64 v[67:68], v[1:2], off offset:16384
	global_load_b64 v[69:70], v[1:2], off offset:17408
	global_load_b64 v[73:74], v[1:2], off offset:18432
	global_load_b64 v[75:76], v[1:2], off offset:19456
	global_load_b64 v[77:78], v[1:2], off offset:20480
	global_load_b64 v[79:80], v[1:2], off offset:21504
	global_load_b64 v[71:72], v[71:72], off
	global_load_b64 v[81:82], v[1:2], off offset:22528
	global_load_b64 v[83:84], v[1:2], off offset:24576
	;; [unrolled: 1-line block ×6, first 2 shown]
	global_load_b64 v[61:62], v[61:62], off
	global_load_b64 v[11:12], v[11:12], off
	global_load_b64 v[93:94], v[1:2], off offset:29696
	v_dual_mov_b32 v1, 0 :: v_dual_add_nc_u32 v2, 0, v48
	v_add_nc_u32_e32 v17, 0, v25
	v_add_nc_u32_e32 v95, 0, v95
	s_delay_alu instid0(VALU_DEP_3)
	v_dual_mov_b32 v21, v1 :: v_dual_add_nc_u32 v96, 0, v96
	v_mov_b32_e32 v23, v1
	v_mov_b32_e32 v47, v1
	;; [unrolled: 1-line block ×13, first 2 shown]
	s_wait_loadcnt 0x1c
	ds_store_2addr_stride64_b64 v2, v[3:4], v[5:6] offset1:2
	s_wait_loadcnt 0x1a
	ds_store_2addr_stride64_b64 v2, v[7:8], v[9:10] offset0:4 offset1:6
	s_wait_loadcnt 0x18
	ds_store_2addr_stride64_b64 v2, v[13:14], v[15:16] offset0:8 offset1:10
	;; [unrolled: 2-line block ×9, first 2 shown]
	s_wait_loadcnt 0x9
	ds_store_b64 v96, v[71:72]
	s_wait_loadcnt 0x7
	ds_store_2addr_stride64_b64 v2, v[81:82], v[83:84] offset0:44 offset1:48
	s_wait_loadcnt 0x5
	ds_store_2addr_stride64_b64 v2, v[85:86], v[87:88] offset0:50 offset1:52
	s_wait_loadcnt 0x3
	ds_store_2addr_stride64_b64 v2, v[89:90], v[91:92] offset0:54 offset1:56
	s_wait_loadcnt 0x2
	ds_store_b64 v95, v[61:62]
	s_wait_loadcnt 0x1
	ds_store_b64 v17, v[11:12]
	s_wait_loadcnt 0x0
	ds_store_b64 v2, v[93:94] offset:29696
.LBB0_13:
	s_or_b32 exec_lo, exec_lo, s1
	v_add_nc_u32_e32 v49, 0, v48
	global_wb scope:SCOPE_SE
	s_wait_dscnt 0x0
	s_barrier_signal -1
	s_barrier_wait -1
	global_inv scope:SCOPE_SE
	ds_load_2addr_stride64_b64 v[6:9], v49 offset1:2
	ds_load_2addr_stride64_b64 v[61:64], v49 offset0:12 offset1:14
	ds_load_2addr_stride64_b64 v[56:59], v49 offset0:24 offset1:26
	;; [unrolled: 1-line block ×7, first 2 shown]
	v_cmp_gt_u32_e64 s0, 0x78, v0
	s_wait_dscnt 0x5
	v_dual_add_f32 v65, v6, v61 :: v_dual_sub_f32 v72, v61, v56
	s_wait_dscnt 0x3
	v_dual_add_f32 v71, v56, v78 :: v_dual_add_f32 v60, v61, v93
	v_dual_sub_f32 v55, v78, v93 :: v_dual_add_f32 v66, v7, v62
	v_dual_sub_f32 v51, v62, v94 :: v_dual_sub_f32 v54, v56, v61
	v_sub_f32_e32 v50, v57, v79
	v_dual_add_f32 v74, v57, v79 :: v_dual_sub_f32 v75, v62, v57
	v_dual_sub_f32 v53, v61, v93 :: v_dual_sub_f32 v52, v56, v78
	v_dual_add_f32 v61, v8, v63 :: v_dual_add_f32 v56, v65, v56
	v_dual_add_f32 v65, v66, v57 :: v_dual_sub_f32 v68, v57, v62
	v_add_f32_e32 v77, v62, v94
	v_dual_sub_f32 v69, v79, v94 :: v_dual_add_f32 v62, v9, v64
	ds_load_2addr_stride64_b64 v[99:102], v49 offset0:40 offset1:42
	ds_load_2addr_stride64_b64 v[106:109], v49 offset0:52 offset1:54
	v_dual_sub_f32 v73, v93, v78 :: v_dual_sub_f32 v92, v94, v79
	v_dual_add_f32 v61, v61, v58 :: v_dual_add_f32 v76, v58, v80
	v_dual_add_f32 v78, v56, v78 :: v_dual_add_f32 v67, v62, v59
	v_sub_f32_e32 v66, v95, v80
	v_add_f32_e32 v82, v65, v79
	s_delay_alu instid0(VALU_DEP_4)
	v_add_f32_e32 v83, v61, v80
	v_dual_sub_f32 v57, v64, v96 :: v_dual_sub_f32 v56, v59, v81
	v_sub_f32_e32 v61, v63, v58
	v_dual_sub_f32 v65, v58, v63 :: v_dual_sub_f32 v88, v59, v64
	v_dual_add_f32 v87, v59, v81 :: v_dual_sub_f32 v62, v64, v59
	v_dual_sub_f32 v58, v58, v80 :: v_dual_sub_f32 v59, v63, v95
	v_add_f32_e32 v90, v64, v96
	v_dual_sub_f32 v70, v80, v95 :: v_dual_sub_f32 v89, v81, v96
	s_wait_dscnt 0x3
	v_dual_add_f32 v79, v78, v93 :: v_dual_add_f32 v80, v4, v12
	v_add_f32_e32 v64, v67, v81
	v_dual_add_f32 v84, v63, v95 :: v_dual_sub_f32 v67, v96, v81
	v_dual_add_f32 v78, v82, v94 :: v_dual_add_f32 v63, v83, v95
	v_dual_add_f32 v81, v5, v13 :: v_dual_add_f32 v82, v2, v10
	v_add_f32_e32 v83, v3, v11
	s_wait_dscnt 0x2
	v_add_f32_e32 v85, v80, v16
	v_add_f32_e32 v64, v64, v96
	v_dual_add_f32 v86, v81, v17 :: v_dual_add_f32 v91, v82, v14
	s_wait_dscnt 0x1
	v_dual_add_f32 v93, v83, v15 :: v_dual_add_f32 v126, v16, v101
	v_dual_sub_f32 v96, v17, v102 :: v_dual_sub_f32 v127, v12, v16
	v_dual_sub_f32 v128, v16, v12 :: v_dual_add_f32 v129, v17, v102
	v_sub_f32_e32 v98, v16, v101
	v_dual_sub_f32 v130, v13, v17 :: v_dual_add_f32 v133, v15, v100
	v_dual_sub_f32 v131, v17, v13 :: v_dual_add_f32 v132, v14, v99
	s_wait_dscnt 0x0
	v_dual_sub_f32 v80, v15, v100 :: v_dual_add_f32 v135, v13, v109
	v_sub_f32_e32 v82, v10, v14
	v_sub_f32_e32 v17, v14, v10
	v_dual_sub_f32 v14, v14, v99 :: v_dual_sub_f32 v105, v12, v108
	v_dual_sub_f32 v16, v11, v15 :: v_dual_sub_f32 v83, v10, v106
	v_dual_sub_f32 v15, v15, v11 :: v_dual_sub_f32 v104, v13, v109
	v_dual_sub_f32 v81, v11, v107 :: v_dual_add_f32 v134, v12, v108
	v_dual_add_f32 v137, v11, v107 :: v_dual_add_f32 v136, v10, v106
	v_add_f32_e32 v85, v85, v101
	ds_load_2addr_stride64_b64 v[110:113], v49 offset0:8 offset1:10
	ds_load_2addr_stride64_b64 v[114:117], v49 offset0:20 offset1:22
	;; [unrolled: 1-line block ×4, first 2 shown]
	v_dual_add_f32 v86, v86, v102 :: v_dual_add_f32 v95, v91, v99
	v_dual_add_f32 v97, v93, v100 :: v_dual_sub_f32 v138, v108, v101
	ds_load_2addr_stride64_b64 v[122:125], v49 offset0:56 offset1:58
	v_dual_sub_f32 v139, v101, v108 :: v_dual_sub_f32 v94, v106, v99
	v_dual_sub_f32 v140, v109, v102 :: v_dual_sub_f32 v141, v102, v109
	v_sub_f32_e32 v91, v107, v100
	v_dual_add_f32 v108, v85, v108 :: v_dual_add_f32 v109, v86, v109
	v_dual_add_f32 v85, v95, v106 :: v_dual_add_f32 v86, v97, v107
	v_dual_sub_f32 v93, v99, v106 :: v_dual_sub_f32 v142, v100, v107
	v_fma_f32 v126, -0.5, v126, v4
	s_wait_dscnt 0x3
	v_add_f32_e32 v97, v111, v115
	s_wait_dscnt 0x2
	v_dual_add_f32 v99, v112, v116 :: v_dual_sub_f32 v146, v114, v10
	s_wait_dscnt 0x1
	v_add_f32_e32 v144, v10, v118
	v_dual_add_f32 v95, v110, v114 :: v_dual_add_f32 v106, v97, v11
	s_delay_alu instid0(VALU_DEP_3) | instskip(NEXT) | instid1(VALU_DEP_2)
	v_dual_add_f32 v100, v113, v117 :: v_dual_add_f32 v107, v99, v12
	v_dual_add_f32 v154, v13, v121 :: v_dual_add_f32 v103, v95, v10
	v_add_f32_e32 v152, v12, v120
	s_delay_alu instid0(VALU_DEP_3)
	v_dual_add_f32 v143, v100, v13 :: v_dual_add_f32 v148, v11, v119
	v_dual_sub_f32 v147, v10, v114 :: v_dual_sub_f32 v150, v115, v11
	s_wait_dscnt 0x0
	v_dual_sub_f32 v149, v10, v118 :: v_dual_sub_f32 v156, v115, v123
	v_dual_sub_f32 v99, v13, v121 :: v_dual_add_f32 v10, v103, v118
	v_fma_f32 v129, -0.5, v129, v5
	v_fma_f32 v5, -0.5, v135, v5
	v_dual_sub_f32 v145, v11, v119 :: v_dual_sub_f32 v100, v116, v12
	v_sub_f32_e32 v151, v11, v115
	v_dual_sub_f32 v153, v12, v116 :: v_dual_sub_f32 v102, v117, v125
	v_sub_f32_e32 v95, v12, v120
	v_dual_sub_f32 v97, v117, v13 :: v_dual_add_f32 v12, v107, v120
	v_sub_f32_e32 v155, v13, v117
	v_add_f32_e32 v157, v114, v122
	v_dual_sub_f32 v114, v114, v122 :: v_dual_add_f32 v13, v115, v123
	v_add_f32_e32 v115, v116, v124
	v_add_f32_e32 v11, v106, v119
	;; [unrolled: 1-line block ×4, first 2 shown]
	v_dual_sub_f32 v101, v116, v124 :: v_dual_add_f32 v116, v117, v125
	v_dual_sub_f32 v117, v122, v118 :: v_dual_add_f32 v158, v72, v73
	v_sub_f32_e32 v118, v118, v122
	v_add_f32_e32 v122, v10, v122
	v_dual_fmamk_f32 v10, v104, 0x3f737871, v126 :: v_dual_sub_f32 v143, v123, v119
	v_dual_sub_f32 v119, v119, v123 :: v_dual_add_f32 v130, v130, v140
	v_fma_f32 v140, -0.5, v74, v7
	v_fma_f32 v7, -0.5, v77, v7
	v_fmamk_f32 v77, v98, 0x3f737871, v5
	v_dual_sub_f32 v103, v125, v121 :: v_dual_add_f32 v92, v75, v92
	v_fma_f32 v138, -0.5, v71, v6
	v_fmamk_f32 v75, v53, 0xbf737871, v140
	v_fma_f32 v161, -0.5, v87, v9
	v_fmac_f32_e32 v9, -0.5, v90
	v_add_f32_e32 v131, v131, v141
	v_fmac_f32_e32 v140, 0x3f737871, v53
	v_dual_fmac_f32 v77, 0xbf167918, v105 :: v_dual_add_f32 v70, v65, v70
	v_dual_sub_f32 v121, v121, v125 :: v_dual_fmamk_f32 v74, v51, 0x3f737871, v138
	v_dual_add_f32 v90, v151, v119 :: v_dual_fmac_f32 v75, 0xbf167918, v52
	v_dual_add_f32 v118, v147, v118 :: v_dual_add_f32 v89, v88, v89
	v_fma_f32 v88, -0.5, v60, v6
	v_fmac_f32_e32 v77, 0x3e9e377a, v131
	v_fmamk_f32 v147, v58, 0x3f737871, v9
	v_dual_fmac_f32 v9, 0xbf737871, v58 :: v_dual_sub_f32 v106, v124, v120
	v_sub_f32_e32 v120, v120, v124
	v_add_f32_e32 v124, v12, v124
	v_dual_fmac_f32 v74, 0x3f167918, v50 :: v_dual_add_f32 v107, v107, v125
	v_fma_f32 v125, -0.5, v13, v111
	v_dual_fmac_f32 v9, 0x3f167918, v59 :: v_dual_fmac_f32 v10, 0x3f167918, v96
	v_fma_f32 v87, -0.5, v157, v110
	s_delay_alu instid0(VALU_DEP_4) | instskip(NEXT) | instid1(VALU_DEP_4)
	v_dual_fmac_f32 v74, 0x3e9e377a, v158 :: v_dual_fmac_f32 v75, 0x3e9e377a, v92
	v_fmamk_f32 v157, v149, 0x3f737871, v125
	s_delay_alu instid0(VALU_DEP_4)
	v_fmac_f32_e32 v9, 0x3e9e377a, v89
	v_fmac_f32_e32 v125, 0xbf737871, v149
	;; [unrolled: 1-line block ×3, first 2 shown]
	v_add_f32_e32 v123, v11, v123
	v_fmamk_f32 v11, v105, 0xbf737871, v129
	v_fmamk_f32 v119, v145, 0xbf737871, v87
	v_fmac_f32_e32 v87, 0x3f737871, v145
	v_fmac_f32_e32 v125, 0x3f167918, v114
	v_mul_f32_e32 v159, 0x3f4f1bbd, v10
	v_mul_f32_e32 v160, 0xbf167918, v10
	v_dual_add_f32 v10, v79, v108 :: v_dual_fmac_f32 v11, 0xbf167918, v98
	v_fmac_f32_e32 v87, 0xbf167918, v156
	v_fmac_f32_e32 v125, 0x3e9e377a, v90
	v_fma_f32 v73, -0.5, v115, v112
	v_fma_f32 v115, -0.5, v154, v113
	v_fmac_f32_e32 v11, 0x3e9e377a, v130
	s_delay_alu instid0(VALU_DEP_4) | instskip(SKIP_2) | instid1(VALU_DEP_4)
	v_dual_fmac_f32 v87, 0x3e9e377a, v118 :: v_dual_mul_f32 v72, 0x3e9e377a, v125
	v_fmac_f32_e32 v113, -0.5, v116
	v_add_f32_e32 v120, v153, v120
	v_dual_fmac_f32 v160, 0x3f4f1bbd, v11 :: v_dual_add_f32 v121, v155, v121
	s_delay_alu instid0(VALU_DEP_4) | instskip(NEXT) | instid1(VALU_DEP_4)
	v_fma_f32 v72, 0xbf737871, v87, -v72
	v_fmamk_f32 v154, v95, 0x3f737871, v113
	v_fmac_f32_e32 v113, 0xbf737871, v95
	v_fmac_f32_e32 v140, 0x3f167918, v52
	v_fma_f32 v116, -0.5, v76, v8
	v_dual_add_f32 v6, v9, v72 :: v_dual_fmac_f32 v159, 0x3f167918, v11
	v_add_f32_e32 v11, v78, v109
	v_fmamk_f32 v151, v99, 0xbf737871, v73
	v_fmac_f32_e32 v73, 0x3f737871, v99
	v_fmac_f32_e32 v113, 0x3f167918, v101
	v_fma_f32 v84, -0.5, v84, v8
	v_sub_f32_e32 v8, v9, v72
	v_fma_f32 v60, -0.5, v133, v3
	v_fmac_f32_e32 v73, 0xbf167918, v102
	v_fmac_f32_e32 v113, 0x3e9e377a, v121
	v_fmac_f32_e32 v5, 0xbf737871, v98
	v_fmac_f32_e32 v129, 0x3f737871, v105
	v_fma_f32 v9, -0.5, v144, v110
	s_delay_alu instid0(VALU_DEP_4) | instskip(SKIP_1) | instid1(VALU_DEP_4)
	v_dual_fmac_f32 v73, 0x3e9e377a, v120 :: v_dual_mul_f32 v76, 0x3e9e377a, v113
	v_fmac_f32_e32 v126, 0xbf737871, v104
	v_dual_fmac_f32 v129, 0x3f167918, v98 :: v_dual_add_f32 v98, v150, v143
	s_delay_alu instid0(VALU_DEP_3) | instskip(SKIP_1) | instid1(VALU_DEP_4)
	v_mul_f32_e32 v72, 0x3e9e377a, v73
	v_fmac_f32_e32 v5, 0x3f167918, v105
	v_fmac_f32_e32 v126, 0xbf167918, v96
	;; [unrolled: 1-line block ×3, first 2 shown]
	v_add_f32_e32 v67, v62, v67
	v_fma_f32 v113, 0x3f737871, v113, -v72
	v_fma_f32 v72, 0xbf737871, v73, -v76
	v_dual_sub_f32 v73, v78, v109 :: v_dual_fmac_f32 v140, 0x3e9e377a, v92
	v_fmamk_f32 v78, v50, 0xbf737871, v88
	v_dual_fmac_f32 v88, 0x3f737871, v50 :: v_dual_fmac_f32 v3, -0.5, v137
	v_fmac_f32_e32 v5, 0x3e9e377a, v131
	v_add_f32_e32 v133, v15, v142
	v_fma_f32 v76, -0.5, v134, v4
	s_delay_alu instid0(VALU_DEP_4)
	v_dual_fmac_f32 v88, 0xbf167918, v51 :: v_dual_add_f32 v13, v75, v160
	v_fmamk_f32 v110, v14, 0x3f737871, v3
	v_fmac_f32_e32 v3, 0xbf737871, v14
	v_fmac_f32_e32 v126, 0x3e9e377a, v127
	v_fma_f32 v4, -0.5, v132, v2
	v_fmamk_f32 v132, v96, 0xbf737871, v76
	v_fmac_f32_e32 v138, 0xbf167918, v50
	v_fmac_f32_e32 v3, 0x3f167918, v83
	v_dual_fmamk_f32 v109, v52, 0x3f737871, v7 :: v_dual_fmac_f32 v76, 0x3f737871, v96
	s_delay_alu instid0(VALU_DEP_4) | instskip(NEXT) | instid1(VALU_DEP_3)
	v_fmac_f32_e32 v132, 0x3f167918, v104
	v_dual_fmac_f32 v138, 0x3e9e377a, v158 :: v_dual_fmac_f32 v3, 0x3e9e377a, v133
	v_fmac_f32_e32 v7, 0xbf737871, v52
	s_delay_alu instid0(VALU_DEP_4) | instskip(SKIP_1) | instid1(VALU_DEP_4)
	v_fmac_f32_e32 v76, 0xbf167918, v104
	v_add_f32_e32 v62, v64, v123
	v_dual_sub_f32 v64, v64, v123 :: v_dual_add_f32 v15, v3, v72
	v_sub_f32_e32 v3, v3, v72
	v_dual_sub_f32 v72, v79, v108 :: v_dual_add_f32 v79, v128, v139
	v_fmac_f32_e32 v7, 0x3f167918, v53
	v_dual_fmac_f32 v129, 0x3e9e377a, v130 :: v_dual_add_f32 v108, v54, v55
	v_mul_f32_e32 v128, 0x3f737871, v77
	s_delay_alu instid0(VALU_DEP_4)
	v_fmac_f32_e32 v132, 0x3e9e377a, v79
	v_fmac_f32_e32 v78, 0x3f167918, v51
	;; [unrolled: 1-line block ×3, first 2 shown]
	v_fmamk_f32 v92, v56, 0xbf737871, v84
	v_fmac_f32_e32 v84, 0x3f737871, v56
	v_mul_f32_e32 v135, 0xbf737871, v132
	v_fmac_f32_e32 v109, 0xbf167918, v53
	v_mul_f32_e32 v53, 0x3f4f1bbd, v129
	v_fma_f32 v111, -0.5, v148, v111
	v_fmac_f32_e32 v128, 0x3e9e377a, v132
	v_fmac_f32_e32 v78, 0x3e9e377a, v108
	v_dual_sub_f32 v55, v75, v160 :: v_dual_fmac_f32 v84, 0xbf167918, v57
	v_fmac_f32_e32 v135, 0x3e9e377a, v77
	v_mul_f32_e32 v77, 0x3e9e377a, v76
	v_fma_f32 v79, 0xbf167918, v126, -v53
	v_dual_fmac_f32 v119, 0x3f167918, v156 :: v_dual_add_f32 v16, v16, v91
	v_add_f32_e32 v12, v74, v159
	v_add_f32_e32 v134, v68, v69
	v_sub_f32_e32 v54, v74, v159
	v_add_f32_e32 v68, v78, v128
	v_sub_f32_e32 v74, v78, v128
	v_mul_f32_e32 v78, 0x3e9e377a, v5
	v_fma_f32 v5, 0x3f737871, v5, -v77
	v_dual_add_f32 v77, v140, v79 :: v_dual_fmac_f32 v92, 0x3f167918, v57
	v_mul_f32_e32 v65, 0x3e9e377a, v87
	v_fmac_f32_e32 v119, 0x3e9e377a, v118
	v_fmamk_f32 v87, v114, 0xbf737871, v111
	v_fmac_f32_e32 v88, 0x3e9e377a, v108
	v_fma_f32 v76, 0xbf737871, v76, -v78
	v_fmac_f32_e32 v157, 0xbf167918, v114
	v_fmac_f32_e32 v147, 0xbf167918, v59
	;; [unrolled: 1-line block ×3, first 2 shown]
	v_add_f32_e32 v50, v88, v5
	v_sub_f32_e32 v52, v88, v5
	v_fmac_f32_e32 v84, 0x3e9e377a, v70
	v_fmac_f32_e32 v92, 0x3e9e377a, v70
	;; [unrolled: 1-line block ×3, first 2 shown]
	v_mul_f32_e32 v5, 0x3f4f1bbd, v126
	v_fmac_f32_e32 v147, 0x3e9e377a, v89
	v_add_f32_e32 v17, v17, v93
	v_dual_fmac_f32 v157, 0x3e9e377a, v90 :: v_dual_add_f32 v96, v146, v117
	s_delay_alu instid0(VALU_DEP_4) | instskip(SKIP_3) | instid1(VALU_DEP_3)
	v_fma_f32 v5, 0x3f167918, v129, -v5
	v_fmac_f32_e32 v7, 0x3e9e377a, v134
	v_dual_fmamk_f32 v88, v57, 0x3f737871, v116 :: v_dual_fmac_f32 v111, 0x3f737871, v114
	v_fmac_f32_e32 v116, 0xbf737871, v57
	v_dual_sub_f32 v78, v138, v5 :: v_dual_add_f32 v51, v7, v76
	v_dual_sub_f32 v53, v7, v76 :: v_dual_mul_f32 v70, 0x3f737871, v157
	v_fma_f32 v7, 0x3f737871, v125, -v65
	v_fmamk_f32 v65, v156, 0x3f737871, v9
	v_dual_fmac_f32 v9, 0xbf737871, v156 :: v_dual_add_f32 v76, v138, v5
	s_delay_alu instid0(VALU_DEP_3)
	v_dual_fmamk_f32 v104, v59, 0xbf737871, v161 :: v_dual_add_f32 v5, v84, v7
	v_dual_sub_f32 v7, v84, v7 :: v_dual_fmac_f32 v116, 0xbf167918, v56
	v_add_f32_e32 v84, v61, v66
	v_fmac_f32_e32 v109, 0x3e9e377a, v134
	v_dual_fmac_f32 v9, 0xbf167918, v145 :: v_dual_fmac_f32 v110, 0xbf167918, v83
	v_fmac_f32_e32 v111, 0x3f167918, v149
	v_fmac_f32_e32 v161, 0x3f737871, v59
	s_delay_alu instid0(VALU_DEP_4) | instskip(NEXT) | instid1(VALU_DEP_4)
	v_add_f32_e32 v69, v109, v135
	v_dual_fmac_f32 v9, 0x3e9e377a, v96 :: v_dual_fmac_f32 v110, 0x3e9e377a, v133
	v_fmac_f32_e32 v88, 0x3f167918, v56
	v_fmac_f32_e32 v104, 0xbf167918, v58
	;; [unrolled: 1-line block ×5, first 2 shown]
	v_mul_f32_e32 v56, 0x3f4f1bbd, v9
	v_fmac_f32_e32 v161, 0x3f167918, v58
	v_dual_add_f32 v61, v63, v122 :: v_dual_fmac_f32 v116, 0x3e9e377a, v84
	v_fmac_f32_e32 v88, 0x3e9e377a, v84
	v_dual_fmac_f32 v104, 0x3e9e377a, v67 :: v_dual_sub_f32 v63, v63, v122
	v_fma_f32 v84, 0x3f167918, v111, -v56
	v_dual_sub_f32 v56, v92, v70 :: v_dual_fmac_f32 v65, 0x3e9e377a, v96
	v_fmac_f32_e32 v161, 0x3e9e377a, v67
	v_fmamk_f32 v67, v81, 0x3f737871, v4
	v_fmac_f32_e32 v4, 0xbf737871, v81
	v_fma_f32 v112, -0.5, v152, v112
	v_add_f32_e32 v89, v92, v70
	v_dual_add_f32 v70, v82, v94 :: v_dual_mul_f32 v105, 0x3f4f1bbd, v65
	v_fmac_f32_e32 v67, 0x3f167918, v80
	v_dual_fmac_f32 v4, 0xbf167918, v80 :: v_dual_sub_f32 v75, v109, v135
	v_mul_f32_e32 v108, 0xbf167918, v65
	v_fmac_f32_e32 v154, 0xbf167918, v101
	s_delay_alu instid0(VALU_DEP_4) | instskip(NEXT) | instid1(VALU_DEP_4)
	v_fmac_f32_e32 v67, 0x3e9e377a, v70
	v_fmac_f32_e32 v4, 0x3e9e377a, v70
	v_fmamk_f32 v70, v83, 0xbf737871, v60
	v_fmac_f32_e32 v60, 0x3f737871, v83
	v_fmac_f32_e32 v154, 0x3e9e377a, v121
	;; [unrolled: 1-line block ×6, first 2 shown]
	s_delay_alu instid0(VALU_DEP_4) | instskip(SKIP_1) | instid1(VALU_DEP_4)
	v_dual_fmamk_f32 v14, v102, 0x3f737871, v112 :: v_dual_sub_f32 v87, v88, v105
	v_fma_f32 v2, -0.5, v136, v2
	v_fmac_f32_e32 v70, 0x3e9e377a, v16
	s_delay_alu instid0(VALU_DEP_4)
	v_fmac_f32_e32 v60, 0x3e9e377a, v16
	v_add_f32_e32 v16, v100, v106
	v_dual_fmac_f32 v14, 0x3f167918, v99 :: v_dual_fmac_f32 v151, 0x3f167918, v102
	v_add_f32_e32 v65, v88, v105
	v_add_f32_e32 v66, v104, v108
	v_sub_f32_e32 v88, v104, v108
	s_delay_alu instid0(VALU_DEP_4)
	v_fmac_f32_e32 v14, 0x3e9e377a, v16
	v_mul_f32_e32 v57, 0x3f4f1bbd, v111
	v_fmac_f32_e32 v151, 0x3e9e377a, v120
	v_mul_f32_e32 v104, 0xbf737871, v119
	v_fmac_f32_e32 v112, 0xbf737871, v102
	v_add_f32_e32 v58, v116, v84
	v_fma_f32 v9, 0xbf167918, v9, -v57
	v_mul_f32_e32 v94, 0xbf737871, v151
	v_mul_f32_e32 v93, 0x3f737871, v154
	v_fmac_f32_e32 v112, 0xbf167918, v99
	v_mul_u32_u24_e32 v71, 10, v0
	v_add_f32_e32 v59, v161, v9
	v_sub_f32_e32 v105, v161, v9
	v_fmamk_f32 v9, v80, 0xbf737871, v2
	v_fmac_f32_e32 v2, 0x3f737871, v80
	v_fmac_f32_e32 v94, 0x3e9e377a, v154
	;; [unrolled: 1-line block ×3, first 2 shown]
	s_delay_alu instid0(VALU_DEP_4) | instskip(NEXT) | instid1(VALU_DEP_4)
	v_dual_add_f32 v16, v85, v124 :: v_dual_fmac_f32 v9, 0x3f167918, v81
	v_fmac_f32_e32 v2, 0xbf167918, v81
	v_add_f32_e32 v80, v97, v103
	v_lshl_add_u32 v71, v71, 3, 0
	v_sub_f32_e32 v81, v86, v107
	v_fmac_f32_e32 v9, 0x3e9e377a, v17
	v_dual_fmac_f32 v2, 0x3e9e377a, v17 :: v_dual_sub_f32 v79, v140, v79
	v_fmac_f32_e32 v104, 0x3e9e377a, v157
	v_fmamk_f32 v17, v101, 0xbf737871, v115
	global_wb scope:SCOPE_SE
	s_barrier_signal -1
	s_barrier_wait -1
	v_sub_f32_e32 v57, v147, v104
	v_dual_fmac_f32 v17, 0xbf167918, v95 :: v_dual_add_f32 v90, v147, v104
	v_sub_f32_e32 v104, v116, v84
	v_mul_f32_e32 v84, 0x3f4f1bbd, v14
	global_inv scope:SCOPE_SE
	v_fmac_f32_e32 v17, 0x3e9e377a, v80
	ds_store_2addr_b64 v71, v[10:11], v[12:13] offset1:1
	ds_store_2addr_b64 v71, v[68:69], v[50:51] offset0:2 offset1:3
	ds_store_2addr_b64 v71, v[76:77], v[72:73] offset0:4 offset1:5
	;; [unrolled: 1-line block ×4, first 2 shown]
	v_fmac_f32_e32 v84, 0x3f167918, v17
	s_delay_alu instid0(VALU_DEP_1) | instskip(NEXT) | instid1(VALU_DEP_1)
	v_dual_fmac_f32 v115, 0x3f737871, v101 :: v_dual_add_f32 v82, v67, v84
	v_dual_sub_f32 v84, v67, v84 :: v_dual_fmac_f32 v115, 0x3f167918, v95
	s_delay_alu instid0(VALU_DEP_1) | instskip(SKIP_2) | instid1(VALU_DEP_3)
	v_fmac_f32_e32 v115, 0x3e9e377a, v80
	v_mul_f32_e32 v83, 0x3f4f1bbd, v112
	v_sub_f32_e32 v80, v85, v124
	v_mul_f32_e32 v92, 0x3f4f1bbd, v115
	s_delay_alu instid0(VALU_DEP_1) | instskip(SKIP_4) | instid1(VALU_DEP_4)
	v_fma_f32 v67, 0xbf167918, v112, -v92
	v_mul_f32_e32 v91, 0xbf167918, v14
	v_add_f32_e32 v92, v110, v94
	v_sub_f32_e32 v94, v110, v94
	v_add_f32_e32 v14, v2, v113
	v_dual_add_f32 v96, v60, v67 :: v_dual_fmac_f32 v91, 0x3f4f1bbd, v17
	v_sub_f32_e32 v98, v60, v67
	v_fmac_f32_e32 v93, 0x3e9e377a, v151
	v_add_f32_e32 v17, v86, v107
	v_fma_f32 v86, 0x3f167918, v115, -v83
	v_add_f32_e32 v83, v70, v91
	v_sub_f32_e32 v85, v70, v91
	v_add_f32_e32 v91, v9, v93
	v_sub_f32_e32 v93, v9, v93
	v_and_b32_e32 v9, 0xffff, v22
	v_add_f32_e32 v95, v4, v86
	v_sub_f32_e32 v97, v4, v86
	v_mul_i32_i24_e32 v4, 10, v20
	v_sub_f32_e32 v2, v2, v113
	v_mul_u32_u24_e32 v10, 0xcccd, v9
	s_delay_alu instid0(VALU_DEP_3) | instskip(SKIP_1) | instid1(VALU_DEP_3)
	v_lshl_add_u32 v51, v4, 3, 0
	v_mul_i32_i24_e32 v4, 10, v22
	v_lshrrev_b32_e32 v11, 19, v10
	v_and_b32_e32 v10, 0xffff, v46
	ds_store_2addr_b64 v51, v[61:62], v[65:66] offset1:1
	ds_store_2addr_b64 v51, v[89:90], v[5:6] offset0:2 offset1:3
	v_lshl_add_u32 v50, v4, 3, 0
	ds_store_2addr_b64 v51, v[58:59], v[63:64] offset0:4 offset1:5
	ds_store_2addr_b64 v51, v[87:88], v[56:57] offset0:6 offset1:7
	;; [unrolled: 1-line block ×3, first 2 shown]
	v_mul_u32_u24_e32 v5, 0xcccd, v10
	v_and_b32_e32 v6, 0xff, v20
	ds_store_2addr_b64 v50, v[16:17], v[82:83] offset1:1
	ds_store_2addr_b64 v50, v[91:92], v[14:15] offset0:2 offset1:3
	ds_store_2addr_b64 v50, v[95:96], v[80:81] offset0:4 offset1:5
	ds_store_2addr_b64 v50, v[84:85], v[93:94] offset0:6 offset1:7
	ds_store_2addr_b64 v50, v[2:3], v[97:98] offset0:8 offset1:9
	v_lshrrev_b32_e32 v8, 19, v5
	v_mul_lo_u16 v2, 0x67, v0
	v_mul_lo_u16 v4, v11, 10
	global_wb scope:SCOPE_SE
	s_wait_dscnt 0x0
	s_barrier_signal -1
	v_mul_lo_u16 v5, v8, 10
	v_lshrrev_b16 v55, 10, v2
	v_mul_lo_u16 v2, 0xcd, v6
	v_sub_nc_u16 v4, v22, v4
	s_barrier_wait -1
	v_sub_nc_u16 v3, v46, v5
	v_mul_lo_u16 v7, v55, 10
	v_lshrrev_b16 v60, 11, v2
	global_inv scope:SCOPE_SE
	v_mul_u32_u24_e32 v11, 0x1e0, v11
	v_and_b32_e32 v12, 0xffff, v3
	v_sub_nc_u16 v15, v0, v7
	v_mul_lo_u16 v17, v60, 10
	v_and_b32_e32 v7, 0xffff, v44
	v_mul_u32_u24_e32 v8, 0x1e0, v8
	v_mul_u32_u24_e32 v14, 5, v12
	v_and_b32_e32 v56, 0xff, v15
	v_and_b32_e32 v55, 0xffff, v55
	v_mul_u32_u24_e32 v15, 0xcccd, v7
	s_delay_alu instid0(VALU_DEP_4)
	v_lshlrev_b32_e32 v52, 3, v14
	v_sub_nc_u16 v14, v20, v17
	v_mul_u32_u24_e32 v17, 5, v56
	v_mul_u32_u24_e32 v55, 0x1e0, v55
	s_clause 0x1
	global_load_b128 v[66:69], v52, s[4:5]
	global_load_b64 v[128:129], v52, s[4:5] offset:32
	v_lshlrev_b32_e32 v17, 3, v17
	global_load_b128 v[72:75], v17, s[4:5]
	v_and_b32_e32 v13, 0xffff, v4
	v_and_b32_e32 v71, 0xff, v14
	v_lshrrev_b32_e32 v14, 19, v15
	s_delay_alu instid0(VALU_DEP_3) | instskip(NEXT) | instid1(VALU_DEP_3)
	v_mul_u32_u24_e32 v4, 5, v13
	v_mul_u32_u24_e32 v15, 5, v71
	s_delay_alu instid0(VALU_DEP_3) | instskip(NEXT) | instid1(VALU_DEP_3)
	v_mul_lo_u16 v53, v14, 10
	v_lshlrev_b32_e32 v16, 3, v4
	s_delay_alu instid0(VALU_DEP_3) | instskip(NEXT) | instid1(VALU_DEP_3)
	v_lshlrev_b32_e32 v54, 3, v15
	v_sub_nc_u16 v15, v44, v53
	s_clause 0x2
	global_load_b128 v[2:5], v16, s[4:5]
	global_load_b64 v[126:127], v16, s[4:5] offset:32
	global_load_b64 v[57:58], v54, s[4:5] offset:32
	v_and_b32_e32 v15, 0xffff, v15
	s_delay_alu instid0(VALU_DEP_1) | instskip(NEXT) | instid1(VALU_DEP_1)
	v_mul_u32_u24_e32 v53, 5, v15
	v_lshlrev_b32_e32 v53, 3, v53
	s_clause 0x8
	global_load_b64 v[130:131], v53, s[4:5] offset:32
	global_load_b64 v[132:133], v17, s[4:5] offset:32
	global_load_b128 v[84:87], v53, s[4:5] offset:16
	global_load_b128 v[90:93], v52, s[4:5] offset:16
	;; [unrolled: 1-line block ×5, first 2 shown]
	global_load_b128 v[106:109], v53, s[4:5]
	global_load_b128 v[110:113], v54, s[4:5]
	v_lshl_add_u32 v52, v42, 3, 0
	v_lshl_add_u32 v17, v30, 3, 0
	ds_load_2addr_stride64_b64 v[62:65], v49 offset0:14 offset1:16
	ds_load_2addr_stride64_b64 v[114:117], v49 offset0:24 offset1:26
	;; [unrolled: 1-line block ×4, first 2 shown]
	ds_load_b64 v[82:83], v52
	ds_load_b64 v[88:89], v17
	v_lshl_add_u32 v54, v46, 3, 0
	v_lshl_add_u32 v53, v44, 3, 0
	s_wait_loadcnt_dscnt 0xc00
	v_mul_f32_e32 v59, v89, v75
	v_dual_mul_f32 v135, v88, v75 :: v_dual_mul_f32 v134, v73, v82
	s_delay_alu instid0(VALU_DEP_2) | instskip(NEXT) | instid1(VALU_DEP_2)
	v_fma_f32 v137, v88, v74, -v59
	v_fmac_f32_e32 v134, v72, v83
	v_lshlrev_b32_e32 v71, 3, v71
	s_wait_loadcnt 0xb
	v_mul_f32_e32 v16, v63, v3
	v_mul_f32_e32 v76, v62, v3
	s_wait_loadcnt 0x9
	v_dual_mul_f32 v88, v118, v58 :: v_dual_mul_f32 v3, v115, v5
	s_delay_alu instid0(VALU_DEP_3) | instskip(NEXT) | instid1(VALU_DEP_3)
	v_fma_f32 v79, v62, v2, -v16
	v_dual_fmac_f32 v76, v63, v2 :: v_dual_mul_f32 v63, v64, v67
	s_delay_alu instid0(VALU_DEP_3) | instskip(SKIP_2) | instid1(VALU_DEP_4)
	v_fmac_f32_e32 v88, v119, v57
	v_mul_f32_e32 v16, v117, v69
	v_mul_f32_e32 v2, v65, v67
	v_fmac_f32_e32 v63, v65, v66
	s_delay_alu instid0(VALU_DEP_3) | instskip(SKIP_1) | instid1(VALU_DEP_4)
	v_fma_f32 v65, v116, v68, -v16
	v_mul_f32_e32 v16, v73, v83
	v_fma_f32 v64, v64, v66, -v2
	v_mul_f32_e32 v66, v122, v129
	v_mul_f32_e32 v67, v116, v69
	v_lshlrev_b32_e32 v13, 3, v13
	v_fma_f32 v136, v72, v82, -v16
	v_dual_mul_f32 v82, v120, v127 :: v_dual_mul_f32 v81, v114, v5
	v_fma_f32 v78, v114, v4, -v3
	v_fmac_f32_e32 v66, v123, v128
	v_fmac_f32_e32 v67, v117, v68
	s_delay_alu instid0(VALU_DEP_4)
	v_dual_fmac_f32 v82, v121, v126 :: v_dual_fmac_f32 v81, v115, v4
	ds_load_b64 v[4:5], v54
	ds_load_b64 v[2:3], v53
	ds_load_2addr_stride64_b64 v[114:117], v49 offset0:48 offset1:50
	v_mul_f32_e32 v16, v119, v58
	v_mul_f32_e32 v58, v123, v129
	v_add3_u32 v13, 0, v11, v13
	s_delay_alu instid0(VALU_DEP_2)
	v_fma_f32 v68, v122, v128, -v58
	s_wait_loadcnt_dscnt 0x700
	v_mul_f32_e32 v58, v117, v133
	v_fmac_f32_e32 v135, v89, v74
	v_fma_f32 v89, v118, v57, -v16
	v_mul_f32_e32 v16, v121, v127
	ds_load_2addr_stride64_b64 v[72:75], v49 offset0:36 offset1:38
	v_mul_f32_e32 v57, v125, v131
	v_fma_f32 v83, v120, v126, -v16
	ds_load_2addr_stride64_b64 v[118:121], v49 offset0:44 offset1:46
	v_mul_f32_e32 v16, v124, v131
	v_mul_f32_e32 v131, v116, v133
	v_fma_f32 v57, v124, v130, -v57
	ds_load_2addr_stride64_b64 v[126:129], v49 offset0:40 offset1:42
	s_wait_loadcnt 0x6
	v_dual_mul_f32 v59, v115, v87 :: v_dual_fmac_f32 v16, v125, v130
	ds_load_2addr_stride64_b64 v[122:125], v49 offset0:32 offset1:34
	v_fma_f32 v130, v116, v132, -v58
	v_dual_mul_f32 v58, v114, v87 :: v_dual_fmac_f32 v131, v117, v132
	s_delay_alu instid0(VALU_DEP_1)
	v_fmac_f32_e32 v58, v115, v86
	s_wait_dscnt 0x3
	v_mul_f32_e32 v62, v75, v85
	v_mul_f32_e32 v61, v74, v85
	s_wait_loadcnt 0x5
	v_mul_f32_e32 v77, v72, v91
	s_delay_alu instid0(VALU_DEP_3) | instskip(SKIP_4) | instid1(VALU_DEP_2)
	v_fma_f32 v62, v74, v84, -v62
	s_wait_dscnt 0x2
	v_mul_f32_e32 v74, v120, v93
	s_wait_loadcnt 0x4
	v_mul_f32_e32 v70, v119, v97
	v_fmac_f32_e32 v74, v121, v92
	v_dual_fmac_f32 v61, v75, v84 :: v_dual_mul_f32 v84, v118, v97
	v_mul_f32_e32 v69, v73, v91
	v_fma_f32 v59, v114, v86, -v59
	ds_load_2addr_stride64_b64 v[114:117], v49 offset0:28 offset1:30
	v_fma_f32 v85, v118, v96, -v70
	v_fmac_f32_e32 v84, v119, v96
	v_fma_f32 v80, v72, v90, -v69
	s_wait_loadcnt_dscnt 0x301
	v_dual_mul_f32 v69, v121, v93 :: v_dual_mul_f32 v118, v122, v99
	v_mul_f32_e32 v86, v124, v95
	v_mul_f32_e32 v72, v129, v101
	v_dual_fmac_f32 v77, v73, v90 :: v_dual_mul_f32 v70, v123, v99
	s_delay_alu instid0(VALU_DEP_4)
	v_fma_f32 v75, v120, v92, -v69
	v_dual_mul_f32 v69, v125, v95 :: v_dual_fmac_f32 v118, v123, v98
	ds_load_2addr_stride64_b64 v[90:93], v49 offset0:18 offset1:22
	v_dual_fmac_f32 v86, v125, v94 :: v_dual_mul_f32 v121, v128, v101
	v_fma_f32 v87, v124, v94, -v69
	ds_load_2addr_stride64_b64 v[94:97], v49 offset1:12
	v_fma_f32 v119, v122, v98, -v70
	v_fma_f32 v120, v128, v100, -v72
	s_wait_loadcnt_dscnt 0x202
	v_dual_mul_f32 v69, v127, v105 :: v_dual_mul_f32 v70, v117, v103
	v_dual_mul_f32 v98, v126, v105 :: v_dual_fmac_f32 v121, v129, v100
	s_wait_loadcnt 0x1
	v_dual_mul_f32 v99, v116, v103 :: v_dual_mul_f32 v72, v114, v109
	s_delay_alu instid0(VALU_DEP_3) | instskip(NEXT) | instid1(VALU_DEP_3)
	v_fma_f32 v100, v126, v104, -v69
	v_fmac_f32_e32 v98, v127, v104
	v_fma_f32 v101, v116, v102, -v70
	s_delay_alu instid0(VALU_DEP_4)
	v_dual_mul_f32 v70, v115, v109 :: v_dual_fmac_f32 v99, v117, v102
	s_wait_dscnt 0x1
	v_mul_f32_e32 v73, v91, v107
	s_wait_loadcnt 0x0
	v_dual_mul_f32 v69, v90, v107 :: v_dual_mul_f32 v102, v93, v113
	v_dual_fmac_f32 v72, v115, v108 :: v_dual_mul_f32 v103, v92, v113
	s_delay_alu instid0(VALU_DEP_3) | instskip(SKIP_1) | instid1(VALU_DEP_3)
	v_fma_f32 v73, v90, v106, -v73
	s_wait_dscnt 0x0
	v_dual_fmac_f32 v69, v91, v106 :: v_dual_mul_f32 v90, v97, v111
	v_fma_f32 v102, v92, v112, -v102
	v_dual_fmac_f32 v103, v93, v112 :: v_dual_add_f32 v92, v135, v98
	v_dual_mul_f32 v104, v96, v111 :: v_dual_add_f32 v91, v137, v100
	s_delay_alu instid0(VALU_DEP_4) | instskip(SKIP_1) | instid1(VALU_DEP_4)
	v_fma_f32 v105, v96, v110, -v90
	v_add_f32_e32 v90, v99, v131
	v_fma_f32 v107, -0.5, v92, v95
	v_dual_add_f32 v92, v101, v130 :: v_dual_add_f32 v93, v134, v99
	s_delay_alu instid0(VALU_DEP_3) | instskip(SKIP_1) | instid1(VALU_DEP_3)
	v_dual_sub_f32 v99, v99, v131 :: v_dual_fmac_f32 v134, -0.5, v90
	v_add_f32_e32 v90, v136, v101
	v_fmac_f32_e32 v136, -0.5, v92
	v_fmac_f32_e32 v104, v97, v110
	v_fma_f32 v106, -0.5, v91, v94
	v_add_f32_e32 v91, v95, v135
	v_dual_sub_f32 v101, v101, v130 :: v_dual_add_f32 v92, v94, v137
	v_fmamk_f32 v94, v99, 0x3f5db3d7, v136
	v_fma_f32 v70, v114, v108, -v70
	v_add_f32_e32 v113, v93, v131
	s_delay_alu instid0(VALU_DEP_3) | instskip(SKIP_2) | instid1(VALU_DEP_2)
	v_mul_f32_e32 v111, 0xbf5db3d7, v94
	v_dual_sub_f32 v108, v135, v98 :: v_dual_add_f32 v109, v92, v100
	v_dual_add_f32 v98, v91, v98 :: v_dual_fmamk_f32 v91, v101, 0xbf5db3d7, v134
	v_dual_sub_f32 v100, v137, v100 :: v_dual_fmamk_f32 v115, v108, 0x3f5db3d7, v106
	s_delay_alu instid0(VALU_DEP_2) | instskip(NEXT) | instid1(VALU_DEP_2)
	v_fmac_f32_e32 v111, 0.5, v91
	v_fmamk_f32 v116, v100, 0xbf5db3d7, v107
	v_lshlrev_b32_e32 v56, 3, v56
	v_dual_mul_f32 v110, 0x3f5db3d7, v91 :: v_dual_add_f32 v91, v98, v113
	s_delay_alu instid0(VALU_DEP_3) | instskip(NEXT) | instid1(VALU_DEP_3)
	v_dual_fmac_f32 v134, 0x3f5db3d7, v101 :: v_dual_add_f32 v93, v116, v111
	v_add3_u32 v114, 0, v55, v56
	v_mad_i32_i24 v55, 0xffffffb8, v20, v51
	v_mad_i32_i24 v56, 0xffffffb8, v22, v50
	v_dual_fmac_f32 v110, 0.5, v94 :: v_dual_fmac_f32 v107, 0x3f5db3d7, v100
	ds_load_b64 v[94:95], v55
	ds_load_b64 v[96:97], v56
	v_fmac_f32_e32 v136, 0xbf5db3d7, v99
	v_add_f32_e32 v112, v90, v130
	v_mul_f32_e32 v117, -0.5, v134
	v_add_f32_e32 v92, v115, v110
	global_wb scope:SCOPE_SE
	s_wait_dscnt 0x0
	v_mul_f32_e32 v101, -0.5, v136
	v_add_f32_e32 v90, v109, v112
	s_barrier_signal -1
	s_barrier_wait -1
	global_inv scope:SCOPE_SE
	v_fmac_f32_e32 v117, 0xbf5db3d7, v136
	v_fmac_f32_e32 v106, 0xbf5db3d7, v108
	ds_store_2addr_b64 v114, v[90:91], v[92:93] offset1:10
	v_sub_f32_e32 v91, v98, v113
	v_sub_f32_e32 v99, v116, v111
	v_dual_fmac_f32 v101, 0x3f5db3d7, v134 :: v_dual_sub_f32 v90, v109, v112
	v_dual_add_f32 v93, v107, v117 :: v_dual_add_f32 v108, v118, v88
	v_add_f32_e32 v109, v94, v102
	s_delay_alu instid0(VALU_DEP_3)
	v_dual_add_f32 v92, v106, v101 :: v_dual_add_f32 v111, v104, v118
	v_sub_f32_e32 v100, v106, v101
	v_add_f32_e32 v106, v95, v103
	v_sub_f32_e32 v101, v107, v117
	v_add_f32_e32 v107, v103, v121
	;; [unrolled: 2-line block ×3, first 2 shown]
	v_dual_sub_f32 v103, v103, v121 :: v_dual_fmac_f32 v104, -0.5, v108
	v_add_f32_e32 v106, v106, v121
	v_sub_f32_e32 v112, v119, v89
	v_add_f32_e32 v108, v105, v119
	v_fmac_f32_e32 v95, -0.5, v107
	v_add_f32_e32 v107, v109, v120
	v_add_f32_e32 v109, v102, v120
	v_dual_fmac_f32 v105, -0.5, v110 :: v_dual_sub_f32 v110, v118, v88
	v_sub_f32_e32 v116, v102, v120
	v_add_f32_e32 v111, v111, v88
	s_delay_alu instid0(VALU_DEP_4)
	v_fma_f32 v94, -0.5, v109, v94
	ds_store_2addr_b64 v114, v[92:93], v[90:91] offset0:20 offset1:30
	ds_store_2addr_b64 v114, v[98:99], v[100:101] offset0:40 offset1:50
	v_fmamk_f32 v115, v110, 0x3f5db3d7, v105
	v_fmamk_f32 v113, v112, 0xbf5db3d7, v104
	v_dual_add_f32 v108, v108, v89 :: v_dual_add_f32 v89, v106, v111
	v_fmamk_f32 v109, v116, 0xbf5db3d7, v95
	v_fmac_f32_e32 v95, 0x3f5db3d7, v116
	s_delay_alu instid0(VALU_DEP_4) | instskip(SKIP_2) | instid1(VALU_DEP_3)
	v_mul_f32_e32 v117, 0x3f5db3d7, v113
	v_and_b32_e32 v60, 0xffff, v60
	v_dual_mul_f32 v118, 0xbf5db3d7, v115 :: v_dual_fmac_f32 v105, 0xbf5db3d7, v110
	v_dual_add_f32 v88, v107, v108 :: v_dual_fmac_f32 v117, 0.5, v115
	s_delay_alu instid0(VALU_DEP_3) | instskip(NEXT) | instid1(VALU_DEP_3)
	v_mul_u32_u24_e32 v60, 0x1e0, v60
	v_fmac_f32_e32 v118, 0.5, v113
	v_fmac_f32_e32 v104, 0x3f5db3d7, v112
	v_dual_mul_f32 v110, -0.5, v105 :: v_dual_sub_f32 v91, v81, v84
	s_delay_alu instid0(VALU_DEP_4)
	v_add3_u32 v71, 0, v60, v71
	v_fmamk_f32 v60, v103, 0x3f5db3d7, v94
	v_dual_fmac_f32 v94, 0xbf5db3d7, v103 :: v_dual_add_f32 v103, v109, v118
	v_mul_f32_e32 v112, -0.5, v104
	v_dual_add_f32 v93, v81, v84 :: v_dual_add_f32 v92, v86, v82
	v_dual_add_f32 v98, v76, v86 :: v_dual_add_f32 v81, v97, v81
	s_delay_alu instid0(VALU_DEP_3) | instskip(SKIP_3) | instid1(VALU_DEP_4)
	v_dual_fmac_f32 v112, 0xbf5db3d7, v105 :: v_dual_sub_f32 v105, v106, v111
	v_fmac_f32_e32 v110, 0x3f5db3d7, v104
	v_add_f32_e32 v102, v60, v117
	v_sub_f32_e32 v104, v107, v108
	v_add_f32_e32 v107, v95, v112
	s_delay_alu instid0(VALU_DEP_4)
	v_dual_fmac_f32 v97, -0.5, v93 :: v_dual_add_f32 v106, v94, v110
	ds_store_2addr_b64 v71, v[88:89], v[102:103] offset1:10
	ds_store_2addr_b64 v71, v[106:107], v[104:105] offset0:20 offset1:30
	v_dual_sub_f32 v89, v95, v112 :: v_dual_sub_f32 v88, v94, v110
	v_sub_f32_e32 v86, v86, v82
	v_add_f32_e32 v94, v87, v83
	v_add_f32_e32 v95, v79, v87
	v_sub_f32_e32 v87, v87, v83
	v_add_f32_e32 v101, v63, v77
	s_delay_alu instid0(VALU_DEP_4) | instskip(NEXT) | instid1(VALU_DEP_4)
	v_dual_fmac_f32 v79, -0.5, v94 :: v_dual_add_f32 v90, v78, v85
	v_add_f32_e32 v83, v95, v83
	s_delay_alu instid0(VALU_DEP_2) | instskip(SKIP_1) | instid1(VALU_DEP_4)
	v_fmamk_f32 v93, v86, 0x3f5db3d7, v79
	v_dual_fmac_f32 v79, 0xbf5db3d7, v86 :: v_dual_fmac_f32 v76, -0.5, v92
	v_fma_f32 v90, -0.5, v90, v96
	s_delay_alu instid0(VALU_DEP_3) | instskip(NEXT) | instid1(VALU_DEP_3)
	v_mul_f32_e32 v95, 0xbf5db3d7, v93
	v_dual_mul_f32 v99, -0.5, v79 :: v_dual_fmamk_f32 v92, v87, 0xbf5db3d7, v76
	v_dual_fmac_f32 v76, 0x3f5db3d7, v87 :: v_dual_sub_f32 v87, v78, v85
	v_sub_f32_e32 v86, v60, v117
	s_delay_alu instid0(VALU_DEP_2) | instskip(NEXT) | instid1(VALU_DEP_3)
	v_mul_f32_e32 v60, -0.5, v76
	v_fmamk_f32 v100, v87, 0xbf5db3d7, v97
	v_fmac_f32_e32 v97, 0x3f5db3d7, v87
	v_sub_f32_e32 v87, v109, v118
	s_delay_alu instid0(VALU_DEP_4) | instskip(SKIP_1) | instid1(VALU_DEP_2)
	v_dual_fmac_f32 v95, 0.5, v92 :: v_dual_fmac_f32 v60, 0xbf5db3d7, v79
	v_fmamk_f32 v94, v91, 0x3f5db3d7, v90
	v_dual_fmac_f32 v90, 0xbf5db3d7, v91 :: v_dual_add_f32 v79, v97, v60
	v_dual_fmac_f32 v99, 0x3f5db3d7, v76 :: v_dual_add_f32 v76, v96, v78
	v_sub_f32_e32 v91, v97, v60
	v_dual_add_f32 v97, v67, v74 :: v_dual_add_f32 v96, v65, v75
	s_delay_alu instid0(VALU_DEP_3) | instskip(NEXT) | instid1(VALU_DEP_4)
	v_add_f32_e32 v78, v90, v99
	v_add_f32_e32 v60, v76, v85
	;; [unrolled: 1-line block ×3, first 2 shown]
	v_dual_add_f32 v84, v98, v82 :: v_dual_mul_f32 v85, 0x3f5db3d7, v92
	v_dual_sub_f32 v90, v90, v99 :: v_dual_add_f32 v99, v64, v80
	v_add_f32_e32 v98, v80, v68
	s_delay_alu instid0(VALU_DEP_3) | instskip(SKIP_4) | instid1(VALU_DEP_3)
	v_add_f32_e32 v82, v76, v84
	v_sub_f32_e32 v84, v76, v84
	v_dual_add_f32 v76, v77, v66 :: v_dual_fmac_f32 v85, 0.5, v93
	v_sub_f32_e32 v77, v77, v66
	v_add_f32_e32 v93, v100, v95
	v_fmac_f32_e32 v63, -0.5, v76
	v_add_f32_e32 v81, v60, v83
	v_sub_f32_e32 v83, v60, v83
	v_sub_f32_e32 v76, v80, v68
	v_dual_add_f32 v80, v5, v67 :: v_dual_fmac_f32 v5, -0.5, v97
	v_fma_f32 v60, -0.5, v96, v4
	v_dual_sub_f32 v96, v67, v74 :: v_dual_sub_f32 v67, v65, v75
	v_add_f32_e32 v92, v94, v85
	ds_store_2addr_b64 v71, v[86:87], v[88:89] offset0:40 offset1:50
	ds_store_2addr_b64 v13, v[81:82], v[92:93] offset1:10
	v_dual_fmamk_f32 v103, v67, 0xbf5db3d7, v5 :: v_dual_fmac_f32 v64, -0.5, v98
	v_fmamk_f32 v97, v76, 0xbf5db3d7, v63
	v_fmac_f32_e32 v63, 0x3f5db3d7, v76
	v_dual_fmac_f32 v5, 0x3f5db3d7, v67 :: v_dual_fmamk_f32 v102, v96, 0x3f5db3d7, v60
	s_delay_alu instid0(VALU_DEP_4) | instskip(SKIP_3) | instid1(VALU_DEP_1)
	v_fmamk_f32 v98, v77, 0x3f5db3d7, v64
	v_dual_fmac_f32 v64, 0xbf5db3d7, v77 :: v_dual_sub_f32 v77, v100, v95
	v_fmac_f32_e32 v60, 0xbf5db3d7, v96
	v_dual_sub_f32 v76, v94, v85 :: v_dual_mul_f32 v85, -0.5, v63
	v_fmac_f32_e32 v85, 0xbf5db3d7, v64
	v_mul_f32_e32 v94, -0.5, v64
	s_delay_alu instid0(VALU_DEP_2)
	v_add_f32_e32 v64, v5, v85
	v_sub_f32_e32 v67, v5, v85
	v_add_f32_e32 v5, v80, v74
	v_add_f32_e32 v80, v101, v66
	v_dual_add_f32 v4, v4, v65 :: v_dual_mul_f32 v85, 0xbf5db3d7, v98
	v_dual_fmac_f32 v94, 0x3f5db3d7, v63 :: v_dual_add_f32 v65, v99, v68
	v_mul_f32_e32 v68, 0x3f5db3d7, v97
	s_delay_alu instid0(VALU_DEP_3) | instskip(NEXT) | instid1(VALU_DEP_3)
	v_dual_add_f32 v4, v4, v75 :: v_dual_fmac_f32 v85, 0.5, v97
	v_add_f32_e32 v63, v60, v94
	v_sub_f32_e32 v66, v60, v94
	v_add_f32_e32 v60, v72, v58
	s_delay_alu instid0(VALU_DEP_4)
	v_add_f32_e32 v74, v4, v65
	v_sub_f32_e32 v94, v4, v65
	v_add_f32_e32 v97, v103, v85
	v_add_f32_e32 v75, v5, v80
	v_dual_sub_f32 v95, v5, v80 :: v_dual_fmac_f32 v68, 0.5, v98
	v_add_f32_e32 v65, v62, v57
	v_dual_add_f32 v5, v61, v16 :: v_dual_add_f32 v4, v70, v59
	s_delay_alu instid0(VALU_DEP_3) | instskip(SKIP_2) | instid1(VALU_DEP_4)
	v_dual_sub_f32 v99, v103, v85 :: v_dual_add_f32 v96, v102, v68
	v_sub_f32_e32 v98, v102, v68
	v_add_f32_e32 v68, v69, v61
	v_fmac_f32_e32 v69, -0.5, v5
	v_sub_f32_e32 v5, v62, v57
	v_sub_f32_e32 v61, v61, v16
	v_dual_add_f32 v62, v73, v62 :: v_dual_fmac_f32 v73, -0.5, v65
	s_delay_alu instid0(VALU_DEP_3)
	v_dual_add_f32 v80, v3, v72 :: v_dual_fmamk_f32 v65, v5, 0xbf5db3d7, v69
	v_fmac_f32_e32 v69, 0x3f5db3d7, v5
	v_fmac_f32_e32 v3, -0.5, v60
	v_sub_f32_e32 v5, v70, v59
	v_dual_fmamk_f32 v85, v61, 0x3f5db3d7, v73 :: v_dual_sub_f32 v60, v72, v58
	v_fmac_f32_e32 v73, 0xbf5db3d7, v61
	v_fma_f32 v4, -0.5, v4, v2
	s_delay_alu instid0(VALU_DEP_4) | instskip(SKIP_1) | instid1(VALU_DEP_4)
	v_dual_mul_f32 v61, -0.5, v69 :: v_dual_fmamk_f32 v72, v5, 0xbf5db3d7, v3
	v_dual_fmac_f32 v3, 0x3f5db3d7, v5 :: v_dual_add_f32 v2, v2, v70
	v_mul_f32_e32 v5, -0.5, v73
	s_delay_alu instid0(VALU_DEP_3) | instskip(SKIP_2) | instid1(VALU_DEP_4)
	v_dual_fmac_f32 v61, 0xbf5db3d7, v73 :: v_dual_add_f32 v16, v68, v16
	v_fmamk_f32 v73, v60, 0x3f5db3d7, v4
	v_fmac_f32_e32 v4, 0xbf5db3d7, v60
	v_fmac_f32_e32 v5, 0x3f5db3d7, v69
	v_dual_add_f32 v62, v62, v57 :: v_dual_add_f32 v69, v80, v58
	v_add_f32_e32 v60, v3, v61
	s_delay_alu instid0(VALU_DEP_2) | instskip(NEXT) | instid1(VALU_DEP_4)
	v_dual_sub_f32 v3, v3, v61 :: v_dual_add_f32 v58, v69, v16
	v_dual_add_f32 v61, v2, v59 :: v_dual_sub_f32 v2, v4, v5
	v_add_f32_e32 v59, v4, v5
	v_mul_f32_e32 v4, 0x3f5db3d7, v65
	v_mul_f32_e32 v5, 0xbf5db3d7, v85
	s_delay_alu instid0(VALU_DEP_4) | instskip(SKIP_4) | instid1(VALU_DEP_2)
	v_add_f32_e32 v57, v61, v62
	v_sub_f32_e32 v61, v61, v62
	v_sub_f32_e32 v62, v69, v16
	v_fmac_f32_e32 v4, 0.5, v85
	v_dual_fmac_f32 v5, 0.5, v65 :: v_dual_lshlrev_b32 v16, 3, v12
	v_add_f32_e32 v68, v73, v4
	s_delay_alu instid0(VALU_DEP_2)
	v_dual_sub_f32 v11, v73, v4 :: v_dual_sub_f32 v12, v72, v5
	v_add_f32_e32 v69, v72, v5
	v_mul_u32_u24_e32 v5, 0x1e0, v14
	v_lshlrev_b32_e32 v14, 3, v15
	v_mul_lo_u16 v4, 0x89, v6
	v_add3_u32 v8, 0, v8, v16
	ds_store_2addr_b64 v13, v[78:79], v[83:84] offset0:20 offset1:30
	ds_store_2addr_b64 v13, v[76:77], v[90:91] offset0:40 offset1:50
	ds_store_2addr_b64 v8, v[74:75], v[96:97] offset1:10
	v_add3_u32 v13, 0, v5, v14
	v_lshrrev_b16 v65, 13, v4
	v_mul_u32_u24_e32 v5, 0x8889, v9
	ds_store_2addr_b64 v8, v[63:64], v[94:95] offset0:20 offset1:30
	ds_store_2addr_b64 v8, v[98:99], v[66:67] offset0:40 offset1:50
	ds_store_2addr_b64 v13, v[57:58], v[68:69] offset1:10
	ds_store_2addr_b64 v13, v[11:12], v[2:3] offset0:40 offset1:50
	v_mul_lo_u16 v8, v65, 60
	v_lshrrev_b32_e32 v6, 21, v5
	v_mul_u32_u24_e32 v2, 0x8889, v10
	ds_store_2addr_b64 v13, v[59:60], v[61:62] offset0:20 offset1:30
	global_wb scope:SCOPE_SE
	s_wait_dscnt 0x0
	v_sub_nc_u16 v3, v20, v8
	v_mul_lo_u16 v8, v6, 60
	v_lshrrev_b32_e32 v66, 21, v2
	s_barrier_signal -1
	s_barrier_wait -1
	v_and_b32_e32 v9, 0xff, v3
	v_mul_u32_u24_e32 v3, 0x8889, v7
	v_sub_nc_u16 v7, v22, v8
	v_mul_lo_u16 v11, v66, 60
	global_inv scope:SCOPE_SE
	v_lshlrev_b32_e32 v70, 3, v9
	v_and_b32_e32 v8, 0xffff, v42
	v_and_b32_e32 v10, 0xffff, v7
	v_lshrrev_b32_e32 v68, 21, v3
	v_mul_u32_u24_e32 v6, 0x3c0, v6
	s_delay_alu instid0(VALU_DEP_4) | instskip(NEXT) | instid1(VALU_DEP_4)
	v_mul_u32_u24_e32 v8, 0x8889, v8
	v_lshlrev_b32_e32 v75, 3, v10
	v_sub_nc_u16 v10, v46, v11
	v_mul_lo_u16 v12, v68, 60
	s_delay_alu instid0(VALU_DEP_4) | instskip(NEXT) | instid1(VALU_DEP_3)
	v_lshrrev_b32_e32 v72, 21, v8
	v_and_b32_e32 v10, 0xffff, v10
	s_delay_alu instid0(VALU_DEP_3) | instskip(NEXT) | instid1(VALU_DEP_3)
	v_sub_nc_u16 v11, v44, v12
	v_mul_lo_u16 v12, v72, 60
	s_delay_alu instid0(VALU_DEP_3)
	v_lshlrev_b32_e32 v114, 3, v10
	s_clause 0x2
	global_load_b64 v[84:85], v70, s[4:5] offset:400
	global_load_b64 v[86:87], v75, s[4:5] offset:400
	global_load_b64 v[88:89], v114, s[4:5] offset:400
	v_and_b32_e32 v9, 0xffff, v40
	v_and_b32_e32 v11, 0xffff, v11
	v_sub_nc_u16 v12, v42, v12
	s_delay_alu instid0(VALU_DEP_3) | instskip(SKIP_1) | instid1(VALU_DEP_4)
	v_mul_u32_u24_e32 v7, 0x8889, v9
	v_and_b32_e32 v9, 0xffff, v38
	v_lshlrev_b32_e32 v74, 3, v11
	s_delay_alu instid0(VALU_DEP_4) | instskip(NEXT) | instid1(VALU_DEP_4)
	v_and_b32_e32 v10, 0xffff, v12
	v_lshrrev_b32_e32 v69, 21, v7
	s_delay_alu instid0(VALU_DEP_4) | instskip(NEXT) | instid1(VALU_DEP_3)
	v_mul_u32_u24_e32 v9, 0x8889, v9
	v_lshlrev_b32_e32 v73, 3, v10
	s_delay_alu instid0(VALU_DEP_3) | instskip(NEXT) | instid1(VALU_DEP_3)
	v_mul_lo_u16 v13, v69, 60
	v_lshrrev_b32_e32 v67, 21, v9
	v_mul_u32_u24_e32 v69, 0x3c0, v69
	s_delay_alu instid0(VALU_DEP_3) | instskip(NEXT) | instid1(VALU_DEP_3)
	v_sub_nc_u16 v13, v40, v13
	v_mul_lo_u16 v14, v67, 60
	v_mul_u32_u24_e32 v67, 0x3c0, v67
	s_delay_alu instid0(VALU_DEP_3) | instskip(NEXT) | instid1(VALU_DEP_3)
	v_and_b32_e32 v11, 0xffff, v13
	v_sub_nc_u16 v13, v38, v14
	v_and_b32_e32 v14, 0xffff, v30
	s_delay_alu instid0(VALU_DEP_3) | instskip(NEXT) | instid1(VALU_DEP_3)
	v_lshlrev_b32_e32 v115, 3, v11
	v_and_b32_e32 v13, 0xffff, v13
	s_delay_alu instid0(VALU_DEP_1)
	v_lshlrev_b32_e32 v119, 3, v13
	s_clause 0x3
	global_load_b64 v[90:91], v74, s[4:5] offset:400
	global_load_b64 v[92:93], v73, s[4:5] offset:400
	;; [unrolled: 1-line block ×4, first 2 shown]
	v_and_b32_e32 v10, 0xffff, v36
	v_and_b32_e32 v12, 0xffff, v34
	;; [unrolled: 1-line block ×4, first 2 shown]
	s_delay_alu instid0(VALU_DEP_4) | instskip(NEXT) | instid1(VALU_DEP_4)
	v_mul_u32_u24_e32 v10, 0x8889, v10
	v_mul_u32_u24_e32 v16, 0x8889, v12
	;; [unrolled: 1-line block ×4, first 2 shown]
	s_delay_alu instid0(VALU_DEP_4) | instskip(NEXT) | instid1(VALU_DEP_4)
	v_lshrrev_b32_e32 v116, 21, v10
	v_lshrrev_b32_e32 v117, 21, v16
	s_delay_alu instid0(VALU_DEP_4) | instskip(NEXT) | instid1(VALU_DEP_4)
	v_lshrrev_b32_e32 v118, 21, v12
	v_lshrrev_b32_e32 v120, 21, v11
	s_delay_alu instid0(VALU_DEP_4) | instskip(NEXT) | instid1(VALU_DEP_4)
	v_mul_lo_u16 v13, v116, 60
	v_mul_lo_u16 v14, v117, 60
	s_delay_alu instid0(VALU_DEP_4) | instskip(NEXT) | instid1(VALU_DEP_4)
	v_mul_lo_u16 v15, v118, 60
	v_mul_lo_u16 v57, v120, 60
	s_delay_alu instid0(VALU_DEP_4) | instskip(NEXT) | instid1(VALU_DEP_4)
	v_sub_nc_u16 v13, v36, v13
	v_sub_nc_u16 v14, v34, v14
	s_delay_alu instid0(VALU_DEP_4) | instskip(NEXT) | instid1(VALU_DEP_4)
	v_sub_nc_u16 v15, v30, v15
	v_sub_nc_u16 v57, v32, v57
	s_delay_alu instid0(VALU_DEP_4) | instskip(NEXT) | instid1(VALU_DEP_4)
	v_and_b32_e32 v59, 0xffff, v13
	v_and_b32_e32 v14, 0xffff, v14
	s_delay_alu instid0(VALU_DEP_4) | instskip(SKIP_1) | instid1(VALU_DEP_4)
	v_and_b32_e32 v15, 0xffff, v15
	v_mul_u32_u24_e32 v13, 0x8889, v58
	v_lshlrev_b32_e32 v121, 3, v59
	s_delay_alu instid0(VALU_DEP_4) | instskip(NEXT) | instid1(VALU_DEP_4)
	v_lshlrev_b32_e32 v122, 3, v14
	v_lshlrev_b32_e32 v123, 3, v15
	s_delay_alu instid0(VALU_DEP_4)
	v_lshrrev_b32_e32 v71, 21, v13
	s_clause 0x2
	global_load_b64 v[98:99], v121, s[4:5] offset:400
	global_load_b64 v[100:101], v122, s[4:5] offset:400
	;; [unrolled: 1-line block ×3, first 2 shown]
	v_and_b32_e32 v57, 0xffff, v57
	v_mul_lo_u16 v59, v71, 60
	s_delay_alu instid0(VALU_DEP_2) | instskip(SKIP_3) | instid1(VALU_DEP_2)
	v_lshlrev_b32_e32 v127, 3, v57
	global_load_b64 v[104:105], v127, s[4:5] offset:400
	v_and_b32_e32 v58, 0xffff, v26
	v_and_b32_e32 v15, 0xffff, v24
	v_mul_u32_u24_e32 v14, 0x8889, v58
	v_mul_lo_u16 v58, 0x89, v0
	s_delay_alu instid0(VALU_DEP_3) | instskip(NEXT) | instid1(VALU_DEP_3)
	v_mul_u32_u24_e32 v15, 0x8889, v15
	v_lshrrev_b32_e32 v124, 21, v14
	s_delay_alu instid0(VALU_DEP_3) | instskip(SKIP_1) | instid1(VALU_DEP_4)
	v_lshrrev_b16 v125, 13, v58
	v_sub_nc_u16 v58, v28, v59
	v_lshrrev_b32_e32 v126, 21, v15
	s_delay_alu instid0(VALU_DEP_4) | instskip(NEXT) | instid1(VALU_DEP_4)
	v_mul_lo_u16 v59, v124, 60
	v_mul_lo_u16 v60, v125, 60
	s_delay_alu instid0(VALU_DEP_4) | instskip(NEXT) | instid1(VALU_DEP_3)
	v_and_b32_e32 v58, 0xffff, v58
	v_sub_nc_u16 v59, v26, v59
	s_delay_alu instid0(VALU_DEP_3) | instskip(NEXT) | instid1(VALU_DEP_3)
	v_sub_nc_u16 v57, v0, v60
	v_lshlrev_b32_e32 v128, 3, v58
	v_mul_lo_u16 v58, v126, 60
	s_delay_alu instid0(VALU_DEP_4) | instskip(NEXT) | instid1(VALU_DEP_4)
	v_and_b32_e32 v59, 0xffff, v59
	v_and_b32_e32 v57, 0xff, v57
	global_load_b64 v[106:107], v128, s[4:5] offset:400
	v_sub_nc_u16 v58, v24, v58
	v_lshlrev_b32_e32 v129, 3, v59
	v_lshlrev_b32_e32 v130, 3, v57
	s_clause 0x1
	global_load_b64 v[108:109], v129, s[4:5] offset:400
	global_load_b64 v[110:111], v130, s[4:5] offset:400
	v_and_b32_e32 v57, 0xffff, v58
	s_delay_alu instid0(VALU_DEP_1)
	v_lshlrev_b32_e32 v131, 3, v57
	global_load_b64 v[112:113], v131, s[4:5] offset:400
	ds_load_2addr_stride64_b64 v[57:60], v49 offset0:32 offset1:34
	ds_load_2addr_stride64_b64 v[61:64], v49 offset0:36 offset1:38
	;; [unrolled: 1-line block ×3, first 2 shown]
	s_wait_loadcnt_dscnt 0xe02
	v_mul_f32_e32 v80, v85, v58
	s_wait_loadcnt 0xd
	v_dual_mul_f32 v132, v85, v57 :: v_dual_mul_f32 v85, v60, v87
	s_wait_loadcnt_dscnt 0xc01
	v_dual_mul_f32 v133, v59, v87 :: v_dual_mul_f32 v136, v61, v89
	v_fma_f32 v134, v84, v57, -v80
	ds_load_2addr_stride64_b64 v[80:83], v49 offset0:44 offset1:46
	v_fmac_f32_e32 v132, v84, v58
	v_mul_f32_e32 v84, v62, v89
	v_fma_f32 v135, v59, v86, -v85
	v_fmac_f32_e32 v133, v60, v86
	ds_load_2addr_stride64_b64 v[57:60], v49 offset0:48 offset1:50
	v_fmac_f32_e32 v136, v62, v88
	v_fma_f32 v138, v61, v88, -v84
	v_add3_u32 v6, 0, v6, v75
	s_wait_loadcnt 0xb
	v_mul_f32_e32 v85, v64, v91
	v_mul_f32_e32 v137, v63, v91
	s_wait_loadcnt_dscnt 0xa02
	v_mul_f32_e32 v61, v77, v93
	v_mul_f32_e32 v140, v76, v93
	s_wait_loadcnt 0x9
	v_mul_f32_e32 v84, v79, v95
	v_fma_f32 v139, v63, v90, -v85
	v_fmac_f32_e32 v137, v64, v90
	v_mul_f32_e32 v141, v78, v95
	v_fma_f32 v142, v76, v92, -v61
	ds_load_2addr_stride64_b64 v[61:64], v49 offset0:52 offset1:54
	s_wait_loadcnt_dscnt 0x802
	v_mul_f32_e32 v76, v81, v97
	v_fmac_f32_e32 v140, v77, v92
	v_fma_f32 v143, v78, v94, -v84
	v_fmac_f32_e32 v141, v79, v94
	ds_load_2addr_stride64_b64 v[84:87], v49 offset1:30
	v_fma_f32 v145, v80, v96, -v76
	ds_load_2addr_stride64_b64 v[76:79], v49 offset0:56 offset1:58
	v_mul_f32_e32 v144, v80, v97
	s_delay_alu instid0(VALU_DEP_1)
	v_fmac_f32_e32 v144, v81, v96
	s_wait_loadcnt 0x7
	v_mul_f32_e32 v88, v83, v99
	s_wait_loadcnt_dscnt 0x603
	v_mul_f32_e32 v80, v58, v101
	s_wait_loadcnt 0x5
	v_dual_mul_f32 v147, v57, v101 :: v_dual_mul_f32 v150, v59, v103
	v_mul_f32_e32 v146, v82, v99
	v_fma_f32 v148, v82, v98, -v88
	v_fma_f32 v149, v57, v100, -v80
	s_delay_alu instid0(VALU_DEP_4)
	v_fmac_f32_e32 v147, v58, v100
	v_mul_f32_e32 v57, v60, v103
	v_fmac_f32_e32 v150, v60, v102
	v_fmac_f32_e32 v146, v83, v98
	s_wait_loadcnt_dscnt 0x402
	v_mul_f32_e32 v58, v62, v105
	v_fma_f32 v152, v59, v102, -v57
	v_mul_f32_e32 v151, v61, v105
	s_delay_alu instid0(VALU_DEP_3) | instskip(SKIP_1) | instid1(VALU_DEP_3)
	v_fma_f32 v153, v61, v104, -v58
	v_lshl_add_u32 v61, v34, 3, 0
	v_fmac_f32_e32 v151, v62, v104
	v_lshl_add_u32 v62, v36, 3, 0
	s_wait_loadcnt 0x3
	v_mul_f32_e32 v155, v63, v107
	v_mul_f32_e32 v80, v64, v107
	s_delay_alu instid0(VALU_DEP_2) | instskip(NEXT) | instid1(VALU_DEP_2)
	v_fmac_f32_e32 v155, v64, v106
	v_fma_f32 v154, v63, v106, -v80
	s_wait_loadcnt_dscnt 0x100
	v_dual_mul_f32 v57, v77, v109 :: v_dual_mul_f32 v58, v111, v87
	v_dual_mul_f32 v59, v111, v86 :: v_dual_mul_f32 v156, v76, v109
	ds_load_b64 v[80:81], v55
	v_fma_f32 v157, v76, v108, -v57
	v_fma_f32 v57, v110, v86, -v58
	v_dual_fmac_f32 v59, v110, v87 :: v_dual_and_b32 v58, 0xffff, v125
	v_fmac_f32_e32 v156, v77, v108
	v_lshl_add_u32 v64, v40, 3, 0
	v_lshl_add_u32 v63, v38, 3, 0
	s_wait_loadcnt 0x0
	v_mul_f32_e32 v60, v79, v113
	v_mul_f32_e32 v125, v78, v113
	v_dual_sub_f32 v76, v84, v57 :: v_dual_sub_f32 v77, v85, v59
	v_mul_u32_u24_e32 v57, 0x3c0, v58
	s_delay_alu instid0(VALU_DEP_4) | instskip(NEXT) | instid1(VALU_DEP_4)
	v_fma_f32 v158, v78, v112, -v60
	v_fmac_f32_e32 v125, v79, v112
	s_delay_alu instid0(VALU_DEP_4)
	v_fma_f32 v78, v84, 2.0, -v76
	v_fma_f32 v79, v85, 2.0, -v77
	v_add3_u32 v130, 0, v57, v130
	v_lshl_add_u32 v60, v32, 3, 0
	v_lshl_add_u32 v59, v28, 3, 0
	;; [unrolled: 1-line block ×4, first 2 shown]
	ds_load_b64 v[82:83], v56
	ds_load_b64 v[84:85], v52
	;; [unrolled: 1-line block ×13, first 2 shown]
	v_and_b32_e32 v65, 0xffff, v65
	s_wait_dscnt 0xd
	v_sub_f32_e32 v109, v81, v132
	v_mul_u32_u24_e32 v132, 0x3c0, v66
	v_sub_f32_e32 v108, v80, v134
	global_wb scope:SCOPE_SE
	s_wait_dscnt 0x0
	v_mul_u32_u24_e32 v65, 0x3c0, v65
	v_fma_f32 v81, v81, 2.0, -v109
	v_dual_sub_f32 v110, v82, v135 :: v_dual_sub_f32 v111, v83, v133
	v_add3_u32 v75, 0, v132, v114
	s_delay_alu instid0(VALU_DEP_4) | instskip(SKIP_1) | instid1(VALU_DEP_4)
	v_add3_u32 v70, 0, v65, v70
	v_fma_f32 v80, v80, 2.0, -v108
	v_fma_f32 v65, v82, 2.0, -v110
	;; [unrolled: 1-line block ×3, first 2 shown]
	v_dual_sub_f32 v112, v96, v138 :: v_dual_sub_f32 v113, v97, v136
	s_barrier_signal -1
	s_barrier_wait -1
	global_inv scope:SCOPE_SE
	v_fma_f32 v82, v96, 2.0, -v112
	v_fma_f32 v83, v97, 2.0, -v113
	ds_store_2addr_b64 v130, v[78:79], v[76:77] offset1:60
	ds_store_2addr_b64 v70, v[80:81], v[108:109] offset1:60
	;; [unrolled: 1-line block ×3, first 2 shown]
	v_dual_sub_f32 v65, v94, v139 :: v_dual_sub_f32 v66, v95, v137
	v_mul_u32_u24_e32 v6, 0x3c0, v68
	ds_store_2addr_b64 v75, v[82:83], v[112:113] offset1:60
	v_dual_sub_f32 v75, v84, v142 :: v_dual_sub_f32 v76, v85, v140
	v_mul_u32_u24_e32 v68, 0x3c0, v72
	v_fma_f32 v77, v94, 2.0, -v65
	v_fma_f32 v78, v95, 2.0, -v66
	v_add3_u32 v6, 0, v6, v74
	v_fma_f32 v79, v84, 2.0, -v75
	v_fma_f32 v80, v85, 2.0, -v76
	v_dual_sub_f32 v81, v86, v143 :: v_dual_sub_f32 v82, v87, v141
	v_add3_u32 v68, 0, v68, v73
	ds_store_2addr_b64 v6, v[77:78], v[65:66] offset1:60
	v_add3_u32 v6, 0, v69, v115
	v_sub_f32_e32 v69, v89, v144
	v_fma_f32 v66, v87, 2.0, -v82
	ds_store_2addr_b64 v68, v[79:80], v[75:76] offset1:60
	v_sub_f32_e32 v68, v88, v145
	v_sub_f32_e32 v76, v92, v149
	v_fma_f32 v65, v86, 2.0, -v81
	v_fma_f32 v73, v89, 2.0, -v69
	v_sub_f32_e32 v77, v93, v147
	v_fma_f32 v72, v88, 2.0, -v68
	v_mul_u32_u24_e32 v70, 0x3c0, v117
	ds_store_2addr_b64 v6, v[65:66], v[81:82] offset1:60
	v_sub_f32_e32 v65, v90, v148
	v_add3_u32 v6, 0, v67, v119
	v_sub_f32_e32 v66, v91, v146
	v_mul_u32_u24_e32 v67, 0x3c0, v116
	v_fma_f32 v78, v92, 2.0, -v76
	v_fma_f32 v79, v93, 2.0, -v77
	ds_store_2addr_b64 v6, v[72:73], v[68:69] offset1:60
	v_sub_f32_e32 v72, v100, v153
	v_fma_f32 v74, v90, 2.0, -v65
	v_fma_f32 v75, v91, 2.0, -v66
	v_add3_u32 v80, 0, v67, v121
	v_add3_u32 v70, 0, v70, v122
	v_dual_sub_f32 v67, v98, v152 :: v_dual_sub_f32 v68, v99, v150
	ds_store_2addr_b64 v80, v[74:75], v[65:66] offset1:60
	ds_store_2addr_b64 v70, v[78:79], v[76:77] offset1:60
	v_dual_sub_f32 v73, v101, v151 :: v_dual_sub_f32 v84, v106, v158
	v_mul_u32_u24_e32 v6, 0x3c0, v118
	v_mul_u32_u24_e32 v65, 0x3c0, v120
	v_fma_f32 v69, v98, 2.0, -v67
	v_fma_f32 v70, v99, 2.0, -v68
	;; [unrolled: 1-line block ×4, first 2 shown]
	v_add3_u32 v6, 0, v6, v123
	v_add3_u32 v66, 0, v65, v127
	v_dual_sub_f32 v74, v102, v154 :: v_dual_sub_f32 v75, v103, v155
	v_dual_sub_f32 v78, v104, v157 :: v_dual_sub_f32 v79, v105, v156
	v_lshrrev_b16 v65, 14, v4
	ds_store_2addr_b64 v6, v[69:70], v[67:68] offset1:60
	v_lshrrev_b32_e32 v4, 22, v5
	ds_store_2addr_b64 v66, v[76:77], v[72:73] offset1:60
	v_mul_u32_u24_e32 v5, 0x3c0, v71
	v_mul_u32_u24_e32 v66, 0x3c0, v124
	v_fma_f32 v80, v102, 2.0, -v74
	v_fma_f32 v81, v103, 2.0, -v75
	;; [unrolled: 1-line block ×4, first 2 shown]
	v_mul_lo_u16 v6, 0x78, v65
	v_mul_lo_u16 v67, 0x78, v4
	v_add3_u32 v5, 0, v5, v128
	v_add3_u32 v66, 0, v66, v129
	v_mul_u32_u24_e32 v68, 0x3c0, v126
	v_sub_nc_u16 v6, v20, v6
	v_sub_nc_u16 v69, v22, v67
	ds_store_2addr_b64 v5, v[80:81], v[74:75] offset1:60
	ds_store_2addr_b64 v66, v[82:83], v[78:79] offset1:60
	v_lshrrev_b32_e32 v66, 22, v3
	v_and_b32_e32 v5, 0xff, v6
	v_and_b32_e32 v6, 0xffff, v69
	v_fma_f32 v86, v106, 2.0, -v84
	v_add3_u32 v68, 0, v68, v131
	v_mul_lo_u16 v69, 0x78, v66
	v_lshrrev_b32_e32 v67, 22, v2
	v_lshlrev_b32_e32 v70, 3, v6
	v_lshlrev_b32_e32 v72, 3, v5
	v_lshrrev_b32_e32 v71, 22, v9
	v_sub_nc_u16 v6, v44, v69
	v_lshrrev_b32_e32 v69, 22, v7
	v_lshrrev_b32_e32 v73, 22, v10
	;; [unrolled: 1-line block ×3, first 2 shown]
	v_mul_lo_u16 v75, 0x78, v71
	v_dual_sub_f32 v85, v107, v125 :: v_dual_and_b32 v6, 0xffff, v6
	s_delay_alu instid0(VALU_DEP_4) | instskip(SKIP_2) | instid1(VALU_DEP_4)
	v_mul_lo_u16 v76, 0x78, v73
	v_lshrrev_b32_e32 v126, 22, v11
	v_lshrrev_b32_e32 v127, 22, v13
	v_lshlrev_b32_e32 v120, 3, v6
	v_fma_f32 v87, v107, 2.0, -v85
	v_lshrrev_b32_e32 v128, 22, v14
	v_lshrrev_b32_e32 v131, 22, v15
	v_mul_u32_u24_e32 v73, 0x780, v73
	v_lshrrev_b32_e32 v3, 23, v3
	ds_store_2addr_b64 v68, v[86:87], v[84:85] offset1:60
	v_mul_lo_u16 v68, 0x78, v67
	global_wb scope:SCOPE_SE
	s_wait_dscnt 0x0
	s_barrier_signal -1
	s_barrier_wait -1
	global_inv scope:SCOPE_SE
	v_sub_nc_u16 v5, v46, v68
	v_lshrrev_b32_e32 v68, 22, v8
	v_mul_lo_u16 v77, 0x78, v131
	v_mul_u32_u24_e32 v67, 0x780, v67
	s_delay_alu instid0(VALU_DEP_4) | instskip(NEXT) | instid1(VALU_DEP_4)
	v_and_b32_e32 v5, 0xffff, v5
	v_mul_lo_u16 v74, 0x78, v68
	s_delay_alu instid0(VALU_DEP_4) | instskip(NEXT) | instid1(VALU_DEP_3)
	v_sub_nc_u16 v77, v24, v77
	v_lshlrev_b32_e32 v119, 3, v5
	v_mul_lo_u16 v5, 0x78, v69
	s_delay_alu instid0(VALU_DEP_4)
	v_sub_nc_u16 v74, v42, v74
	s_clause 0x2
	global_load_b64 v[87:88], v72, s[4:5] offset:880
	global_load_b64 v[91:92], v70, s[4:5] offset:880
	;; [unrolled: 1-line block ×3, first 2 shown]
	v_mul_u32_u24_e32 v69, 0x780, v69
	v_sub_nc_u16 v5, v40, v5
	v_and_b32_e32 v6, 0xffff, v74
	v_sub_nc_u16 v74, v38, v75
	v_sub_nc_u16 v75, v36, v76
	v_mul_lo_u16 v76, 0x78, v127
	v_and_b32_e32 v5, 0xffff, v5
	v_lshlrev_b32_e32 v121, 3, v6
	v_and_b32_e32 v6, 0xffff, v74
	v_lshrrev_b32_e32 v74, 22, v12
	v_and_b32_e32 v75, 0xffff, v75
	v_lshlrev_b32_e32 v123, 3, v5
	v_mul_lo_u16 v5, 0x78, v122
	v_lshlrev_b32_e32 v124, 3, v6
	v_mul_lo_u16 v6, 0x78, v74
	s_clause 0x3
	global_load_b64 v[95:96], v120, s[4:5] offset:880
	global_load_b64 v[97:98], v121, s[4:5] offset:880
	;; [unrolled: 1-line block ×4, first 2 shown]
	v_lshlrev_b32_e32 v125, 3, v75
	v_sub_nc_u16 v5, v34, v5
	v_mul_lo_u16 v75, 0x78, v126
	v_sub_nc_u16 v6, v30, v6
	global_load_b64 v[103:104], v125, s[4:5] offset:880
	v_and_b32_e32 v5, 0xffff, v5
	v_sub_nc_u16 v75, v32, v75
	v_and_b32_e32 v6, 0xffff, v6
	s_delay_alu instid0(VALU_DEP_3) | instskip(SKIP_1) | instid1(VALU_DEP_3)
	v_lshlrev_b32_e32 v129, 3, v5
	v_sub_nc_u16 v5, v28, v76
	v_lshlrev_b32_e32 v130, 3, v6
	v_and_b32_e32 v6, 0xffff, v75
	v_mul_lo_u16 v75, 0x78, v128
	global_load_b64 v[105:106], v129, s[4:5] offset:880
	v_and_b32_e32 v76, 0xffff, v5
	v_add_nc_u32_e32 v5, 0xffffff88, v0
	v_lshlrev_b32_e32 v132, 3, v6
	global_load_b64 v[107:108], v130, s[4:5] offset:880
	v_sub_nc_u16 v75, v26, v75
	v_lshlrev_b32_e32 v133, 3, v76
	s_clause 0x1
	global_load_b64 v[109:110], v132, s[4:5] offset:880
	global_load_b64 v[111:112], v133, s[4:5] offset:880
	s_wait_alu 0xf1ff
	v_cndmask_b32_e64 v5, v5, v0, s0
	v_mov_b32_e32 v6, 0
	v_and_b32_e32 v78, 0xffff, v75
	v_and_b32_e32 v77, 0xffff, v77
	s_delay_alu instid0(VALU_DEP_3) | instskip(NEXT) | instid1(VALU_DEP_3)
	v_lshlrev_b64_e32 v[75:76], 3, v[5:6]
	v_lshlrev_b32_e32 v134, 3, v78
	s_delay_alu instid0(VALU_DEP_3) | instskip(NEXT) | instid1(VALU_DEP_3)
	v_lshlrev_b32_e32 v135, 3, v77
	v_add_co_u32 v75, s0, s4, v75
	s_wait_alu 0xf1ff
	s_delay_alu instid0(VALU_DEP_4)
	v_add_co_ci_u32_e64 v76, s0, s5, v76, s0
	s_clause 0x2
	global_load_b64 v[113:114], v134, s[4:5] offset:880
	global_load_b64 v[115:116], v[75:76], off offset:880
	global_load_b64 v[117:118], v135, s[4:5] offset:880
	ds_load_2addr_stride64_b64 v[75:78], v49 offset0:32 offset1:34
	ds_load_2addr_stride64_b64 v[79:82], v49 offset0:36 offset1:38
	;; [unrolled: 1-line block ×3, first 2 shown]
	v_cmp_lt_u32_e64 s0, 0x77, v0
	s_wait_loadcnt_dscnt 0xe02
	v_mul_f32_e32 v89, v88, v76
	v_mul_f32_e32 v136, v88, v75
	s_wait_loadcnt 0xd
	v_mul_f32_e32 v137, v92, v78
	v_mul_f32_e32 v138, v92, v77
	s_wait_loadcnt_dscnt 0xc01
	v_mul_f32_e32 v140, v79, v94
	v_fma_f32 v139, v87, v75, -v89
	v_fmac_f32_e32 v136, v87, v76
	ds_load_2addr_stride64_b64 v[87:90], v49 offset0:44 offset1:46
	v_mul_f32_e32 v75, v80, v94
	v_fma_f32 v137, v91, v77, -v137
	v_fmac_f32_e32 v138, v91, v78
	v_fmac_f32_e32 v140, v80, v93
	v_add3_u32 v67, 0, v67, v119
	v_fma_f32 v142, v79, v93, -v75
	ds_load_2addr_stride64_b64 v[75:78], v49 offset0:48 offset1:50
	v_lshlrev_b32_e32 v5, 3, v5
	s_wait_loadcnt 0xb
	v_mul_f32_e32 v91, v82, v96
	v_mul_f32_e32 v141, v81, v96
	s_wait_loadcnt_dscnt 0xa02
	v_mul_f32_e32 v79, v84, v98
	s_wait_loadcnt 0x9
	v_dual_mul_f32 v144, v83, v98 :: v_dual_mul_f32 v145, v85, v100
	v_fma_f32 v143, v81, v95, -v91
	v_fmac_f32_e32 v141, v82, v95
	v_fma_f32 v146, v83, v97, -v79
	ds_load_2addr_stride64_b64 v[79:82], v49 offset0:52 offset1:54
	v_dual_mul_f32 v91, v86, v100 :: v_dual_fmac_f32 v144, v84, v97
	s_wait_loadcnt_dscnt 0x802
	v_mul_f32_e32 v83, v88, v102
	v_dual_mul_f32 v148, v87, v102 :: v_dual_fmac_f32 v145, v86, v99
	s_delay_alu instid0(VALU_DEP_3)
	v_fma_f32 v147, v85, v99, -v91
	s_wait_loadcnt 0x7
	v_mul_f32_e32 v149, v89, v104
	v_fma_f32 v150, v87, v101, -v83
	ds_load_2addr_stride64_b64 v[83:86], v49 offset0:56 offset1:58
	ds_load_2addr_stride64_b64 v[91:94], v49 offset1:30
	v_fmac_f32_e32 v148, v88, v101
	v_add3_u32 v69, 0, v69, v123
	s_wait_loadcnt_dscnt 0x603
	v_mul_f32_e32 v87, v76, v106
	v_dual_mul_f32 v152, v75, v106 :: v_dual_mul_f32 v95, v90, v104
	v_add3_u32 v73, 0, v73, v125
	s_wait_loadcnt 0x5
	v_mul_f32_e32 v154, v77, v108
	v_mul_f32_e32 v88, v78, v108
	v_fmac_f32_e32 v152, v76, v105
	v_fma_f32 v151, v89, v103, -v95
	s_wait_loadcnt_dscnt 0x402
	v_mul_f32_e32 v156, v79, v110
	s_wait_loadcnt 0x3
	v_mul_f32_e32 v76, v82, v112
	v_mul_f32_e32 v112, v81, v112
	v_fma_f32 v153, v75, v105, -v87
	v_dual_mul_f32 v75, v80, v110 :: v_dual_fmac_f32 v154, v78, v107
	v_dual_fmac_f32 v149, v90, v103 :: v_dual_fmac_f32 v156, v80, v109
	v_fma_f32 v155, v77, v107, -v88
	s_delay_alu instid0(VALU_DEP_3)
	v_fma_f32 v157, v79, v109, -v75
	ds_load_b64 v[79:80], v55
	v_fma_f32 v158, v81, v111, -v76
	v_fmac_f32_e32 v112, v82, v111
	s_wait_alu 0xf1ff
	v_cndmask_b32_e64 v81, 0, 0x780, s0
	v_cmp_gt_u32_e64 s0, 0xf0, v20
	s_wait_loadcnt_dscnt 0x202
	v_mul_f32_e32 v75, v84, v114
	s_wait_loadcnt_dscnt 0x101
	v_mul_f32_e32 v76, v116, v94
	s_wait_loadcnt 0x0
	v_dual_mul_f32 v77, v116, v93 :: v_dual_mul_f32 v78, v86, v118
	v_add3_u32 v116, 0, v81, v5
	s_wait_dscnt 0x0
	s_delay_alu instid0(VALU_DEP_2) | instskip(SKIP_3) | instid1(VALU_DEP_4)
	v_dual_fmac_f32 v77, v115, v94 :: v_dual_sub_f32 v108, v80, v136
	v_mul_f32_e32 v111, v83, v114
	v_fma_f32 v114, v83, v113, -v75
	v_fma_f32 v75, v115, v93, -v76
	v_dual_sub_f32 v76, v92, v77 :: v_dual_mul_f32 v115, v85, v118
	s_delay_alu instid0(VALU_DEP_4) | instskip(SKIP_1) | instid1(VALU_DEP_4)
	v_fmac_f32_e32 v111, v84, v113
	v_fma_f32 v113, v85, v117, -v78
	v_sub_f32_e32 v75, v91, v75
	s_delay_alu instid0(VALU_DEP_4)
	v_fma_f32 v78, v92, 2.0, -v76
	v_fmac_f32_e32 v115, v86, v117
	v_fma_f32 v80, v80, 2.0, -v108
	v_lshrrev_b32_e32 v117, 23, v11
	v_fma_f32 v77, v91, 2.0, -v75
	ds_load_b64 v[81:82], v56
	ds_load_b64 v[83:84], v52
	;; [unrolled: 1-line block ×13, first 2 shown]
	v_and_b32_e32 v5, 0xffff, v65
	v_sub_f32_e32 v107, v79, v139
	global_wb scope:SCOPE_SE
	s_wait_dscnt 0x0
	s_barrier_signal -1
	s_barrier_wait -1
	v_mul_u32_u24_e32 v5, 0x780, v5
	v_fma_f32 v79, v79, 2.0, -v107
	v_dual_sub_f32 v109, v81, v137 :: v_dual_sub_f32 v110, v82, v138
	global_inv scope:SCOPE_SE
	v_add3_u32 v65, 0, v5, v72
	v_mul_u32_u24_e32 v72, 0x780, v4
	v_fma_f32 v81, v81, 2.0, -v109
	v_fma_f32 v82, v82, 2.0, -v110
	v_dual_sub_f32 v4, v95, v142 :: v_dual_sub_f32 v5, v96, v140
	s_delay_alu instid0(VALU_DEP_4)
	v_add3_u32 v70, 0, v72, v70
	ds_store_2addr_b64 v116, v[77:78], v[75:76] offset1:120
	ds_store_2addr_b64 v65, v[79:80], v[107:108] offset1:120
	;; [unrolled: 1-line block ×3, first 2 shown]
	v_fma_f32 v95, v95, 2.0, -v4
	v_fma_f32 v96, v96, 2.0, -v5
	v_dual_sub_f32 v75, v93, v143 :: v_dual_sub_f32 v76, v94, v141
	v_mul_u32_u24_e32 v72, 0x780, v68
	v_sub_f32_e32 v77, v85, v147
	ds_store_2addr_b64 v67, v[95:96], v[4:5] offset1:120
	v_mul_u32_u24_e32 v67, 0x780, v66
	v_dual_sub_f32 v4, v83, v146 :: v_dual_sub_f32 v5, v84, v144
	v_sub_f32_e32 v80, v106, v115
	v_fma_f32 v65, v93, 2.0, -v75
	v_fma_f32 v66, v94, 2.0, -v76
	v_add3_u32 v70, 0, v67, v120
	v_fma_f32 v67, v83, 2.0, -v4
	v_fma_f32 v68, v84, 2.0, -v5
	v_sub_f32_e32 v78, v86, v145
	v_add3_u32 v72, 0, v72, v121
	ds_store_2addr_b64 v70, v[65:66], v[75:76] offset1:120
	v_fma_f32 v65, v85, 2.0, -v77
	v_mul_u32_u24_e32 v70, 0x780, v71
	v_fma_f32 v66, v86, 2.0, -v78
	ds_store_2addr_b64 v72, v[67:68], v[4:5] offset1:120
	v_dual_sub_f32 v4, v87, v150 :: v_dual_sub_f32 v5, v88, v148
	v_mul_u32_u24_e32 v81, 0x780, v74
	ds_store_2addr_b64 v69, v[65:66], v[77:78] offset1:120
	v_add3_u32 v78, 0, v70, v124
	v_fma_f32 v67, v87, 2.0, -v4
	v_fma_f32 v68, v88, 2.0, -v5
	v_mul_u32_u24_e32 v77, 0x780, v122
	v_dual_sub_f32 v65, v89, v151 :: v_dual_sub_f32 v66, v90, v149
	v_sub_f32_e32 v71, v91, v153
	ds_store_2addr_b64 v78, v[67:68], v[4:5] offset1:120
	v_add3_u32 v79, 0, v77, v129
	v_dual_sub_f32 v77, v97, v155 :: v_dual_sub_f32 v78, v98, v154
	v_sub_f32_e32 v72, v92, v152
	v_fma_f32 v70, v90, 2.0, -v66
	v_sub_f32_e32 v68, v102, v112
	v_fma_f32 v69, v89, 2.0, -v65
	v_fma_f32 v4, v97, 2.0, -v77
	;; [unrolled: 1-line block ×3, first 2 shown]
	v_add3_u32 v84, 0, v81, v130
	v_fma_f32 v75, v91, 2.0, -v71
	v_fma_f32 v76, v92, 2.0, -v72
	ds_store_2addr_b64 v73, v[69:70], v[65:66] offset1:120
	ds_store_2addr_b64 v79, v[75:76], v[71:72] offset1:120
	v_dual_sub_f32 v65, v99, v157 :: v_dual_sub_f32 v66, v100, v156
	v_mul_u32_u24_e32 v83, 0x780, v126
	ds_store_2addr_b64 v84, v[4:5], v[77:78] offset1:120
	v_add_nc_u32_e32 v5, 0xffffff90, v0
	v_sub_f32_e32 v67, v101, v158
	v_mul_u32_u24_e32 v85, 0x780, v127
	v_fma_f32 v69, v99, 2.0, -v65
	v_fma_f32 v70, v100, 2.0, -v66
	v_add3_u32 v83, 0, v83, v132
	s_wait_alu 0xf1ff
	v_cndmask_b32_e64 v5, v5, v20, s0
	v_fma_f32 v75, v101, 2.0, -v67
	v_fma_f32 v76, v102, 2.0, -v68
	v_add3_u32 v4, 0, v85, v133
	ds_store_2addr_b64 v83, v[69:70], v[65:66] offset1:120
	ds_store_2addr_b64 v4, v[75:76], v[67:68] offset1:120
	v_lshlrev_b64_e32 v[65:66], 3, v[5:6]
	v_lshrrev_b32_e32 v109, 23, v2
	v_lshlrev_b64_e32 v[1:2], 3, v[0:1]
	v_dual_sub_f32 v71, v103, v114 :: v_dual_sub_f32 v72, v104, v111
	v_mul_u32_u24_e32 v86, 0x780, v128
	s_delay_alu instid0(VALU_DEP_4)
	v_mul_lo_u16 v4, 0xf0, v109
	v_add_co_u32 v65, s0, s4, v65
	v_mul_lo_u16 v68, 0xf0, v3
	v_sub_f32_e32 v79, v105, v113
	v_mul_u32_u24_e32 v87, 0x780, v131
	v_lshrrev_b32_e32 v110, 23, v8
	s_wait_alu 0xf1ff
	v_add_co_ci_u32_e64 v66, s0, s5, v66, s0
	v_add_co_u32 v3, s0, s4, v1
	v_fma_f32 v73, v103, 2.0, -v71
	v_fma_f32 v74, v104, 2.0, -v72
	v_add3_u32 v77, 0, v86, v134
	v_sub_nc_u16 v67, v46, v4
	s_wait_alu 0xf1ff
	v_add_co_ci_u32_e64 v4, s0, s5, v2, s0
	v_sub_nc_u16 v8, v44, v68
	v_fma_f32 v81, v105, 2.0, -v79
	v_fma_f32 v82, v106, 2.0, -v80
	v_add3_u32 v78, 0, v87, v135
	v_mul_lo_u16 v69, 0xf0, v110
	ds_store_2addr_b64 v77, v[73:74], v[71:72] offset1:120
	ds_store_2addr_b64 v78, v[81:82], v[79:80] offset1:120
	global_wb scope:SCOPE_SE
	s_wait_dscnt 0x0
	s_barrier_signal -1
	s_barrier_wait -1
	global_inv scope:SCOPE_SE
	v_lshrrev_b32_e32 v68, 23, v7
	v_and_b32_e32 v70, 0xffff, v8
	s_clause 0x1
	global_load_b64 v[7:8], v[3:4], off offset:1968
	global_load_b64 v[81:82], v[65:66], off offset:1840
	v_and_b32_e32 v67, 0xffff, v67
	v_sub_nc_u16 v69, v42, v69
	v_mul_lo_u16 v68, 0xf0, v68
	v_lshrrev_b32_e32 v111, 23, v9
	v_lshrrev_b32_e32 v114, 23, v16
	v_lshlrev_b32_e32 v112, 3, v67
	v_and_b32_e32 v69, 0xffff, v69
	v_sub_nc_u16 v67, v40, v68
	v_mul_lo_u16 v68, 0xf0, v111
	v_lshrrev_b32_e32 v121, 23, v14
	global_load_b64 v[83:84], v112, s[4:5] offset:1840
	v_lshlrev_b32_e32 v113, 3, v70
	v_lshrrev_b32_e32 v70, 23, v10
	v_lshlrev_b32_e32 v115, 3, v69
	v_sub_nc_u16 v65, v38, v68
	v_mul_lo_u16 v68, 0xf0, v114
	s_clause 0x1
	global_load_b64 v[85:86], v113, s[4:5] offset:1840
	global_load_b64 v[87:88], v115, s[4:5] offset:1840
	v_and_b32_e32 v67, 0xffff, v67
	v_mul_lo_u16 v66, 0xf0, v70
	v_and_b32_e32 v65, 0xffff, v65
	v_lshrrev_b32_e32 v69, 23, v15
	v_cmp_lt_u32_e64 s0, 0xef, v20
	v_lshlrev_b32_e32 v116, 3, v67
	v_sub_nc_u16 v66, v36, v66
	v_sub_nc_u16 v67, v34, v68
	v_lshrrev_b32_e32 v68, 23, v12
	v_lshlrev_b32_e32 v118, 3, v65
	global_load_b64 v[89:90], v116, s[4:5] offset:1840
	v_and_b32_e32 v66, 0xffff, v66
	v_and_b32_e32 v67, 0xffff, v67
	v_mul_lo_u16 v65, 0xf0, v68
	global_load_b64 v[91:92], v118, s[4:5] offset:1840
	v_mul_lo_u16 v68, 0xf0, v121
	v_lshlrev_b32_e32 v119, 3, v66
	v_lshlrev_b32_e32 v120, 3, v67
	v_mul_lo_u16 v66, 0xf0, v117
	v_lshrrev_b32_e32 v67, 23, v13
	v_sub_nc_u16 v65, v30, v65
	s_clause 0x1
	global_load_b64 v[93:94], v119, s[4:5] offset:1840
	global_load_b64 v[95:96], v120, s[4:5] offset:1840
	v_lshlrev_b32_e32 v5, 3, v5
	v_sub_nc_u16 v66, v32, v66
	v_mul_lo_u16 v67, 0xf0, v67
	v_and_b32_e32 v65, 0xffff, v65
	v_lshrrev_b32_e32 v12, 24, v12
	v_lshrrev_b32_e32 v16, 24, v16
	v_and_b32_e32 v66, 0xffff, v66
	v_sub_nc_u16 v67, v28, v67
	v_lshlrev_b32_e32 v122, 3, v65
	v_sub_nc_u16 v65, v26, v68
	v_mul_lo_u16 v12, 0x1e0, v12
	v_lshlrev_b32_e32 v123, 3, v66
	v_and_b32_e32 v66, 0xffff, v67
	global_load_b64 v[97:98], v122, s[4:5] offset:1840
	v_mul_lo_u16 v67, 0xf0, v69
	v_sub_nc_u16 v12, v30, v12
	global_load_b64 v[99:100], v123, s[4:5] offset:1840
	v_lshlrev_b32_e32 v124, 3, v66
	v_mul_lo_u16 v16, 0x1e0, v16
	v_sub_nc_u16 v66, v24, v67
	v_lshrrev_b32_e32 v13, 24, v13
	v_lshrrev_b32_e32 v14, 24, v14
	global_load_b64 v[101:102], v124, s[4:5] offset:1840
	v_and_b32_e32 v65, 0xffff, v65
	v_lshlrev_b64_e32 v[42:43], 3, v[42:43]
	v_lshlrev_b64_e32 v[30:31], 3, v[30:31]
	v_and_b32_e32 v12, 0xffff, v12
	s_delay_alu instid0(VALU_DEP_4) | instskip(SKIP_4) | instid1(VALU_DEP_1)
	v_lshlrev_b32_e32 v125, 3, v65
	s_clause 0x1
	global_load_b64 v[103:104], v125, s[4:5] offset:1840
	global_load_b64 v[105:106], v[3:4], off offset:1840
	v_and_b32_e32 v65, 0xffff, v66
	v_lshlrev_b32_e32 v126, 3, v65
	global_load_b64 v[107:108], v126, s[4:5] offset:1840
	ds_load_2addr_stride64_b64 v[65:68], v49 offset0:32 offset1:34
	ds_load_2addr_stride64_b64 v[69:72], v49 offset0:36 offset1:38
	;; [unrolled: 1-line block ×4, first 2 shown]
	s_wait_loadcnt_dscnt 0xe03
	v_mul_f32_e32 v129, v8, v67
	s_wait_loadcnt 0xd
	v_mul_f32_e32 v127, v82, v66
	v_mul_f32_e32 v128, v82, v65
	;; [unrolled: 1-line block ×3, first 2 shown]
	v_fmac_f32_e32 v129, v7, v68
	s_delay_alu instid0(VALU_DEP_4) | instskip(NEXT) | instid1(VALU_DEP_4)
	v_fma_f32 v127, v81, v65, -v127
	v_fmac_f32_e32 v128, v81, v66
	s_delay_alu instid0(VALU_DEP_4) | instskip(SKIP_4) | instid1(VALU_DEP_2)
	v_fma_f32 v130, v7, v67, -v82
	ds_load_2addr_stride64_b64 v[65:68], v49 offset0:48 offset1:50
	s_wait_loadcnt_dscnt 0xc03
	v_mul_f32_e32 v8, v70, v84
	v_mul_f32_e32 v131, v69, v84
	v_fma_f32 v132, v69, v83, -v8
	s_wait_loadcnt 0xb
	v_mul_f32_e32 v7, v72, v86
	v_mul_f32_e32 v133, v71, v86
	v_fmac_f32_e32 v131, v70, v83
	s_wait_loadcnt_dscnt 0xa02
	v_mul_f32_e32 v8, v74, v88
	v_mul_f32_e32 v135, v73, v88
	v_fma_f32 v134, v71, v85, -v7
	v_fmac_f32_e32 v133, v72, v85
	ds_load_2addr_stride64_b64 v[69:72], v49 offset0:52 offset1:54
	v_fma_f32 v136, v73, v87, -v8
	v_fmac_f32_e32 v135, v74, v87
	s_wait_loadcnt 0x9
	v_mul_f32_e32 v7, v76, v90
	s_wait_loadcnt_dscnt 0x802
	v_dual_mul_f32 v137, v75, v90 :: v_dual_mul_f32 v8, v78, v92
	s_delay_alu instid0(VALU_DEP_2) | instskip(NEXT) | instid1(VALU_DEP_2)
	v_fma_f32 v139, v75, v89, -v7
	v_fmac_f32_e32 v137, v76, v89
	ds_load_2addr_stride64_b64 v[73:76], v49 offset0:56 offset1:58
	ds_load_2addr_stride64_b64 v[81:84], v49 offset1:30
	v_mul_f32_e32 v138, v77, v92
	v_fma_f32 v141, v77, v91, -v8
	s_wait_loadcnt_dscnt 0x603
	v_dual_mul_f32 v7, v80, v94 :: v_dual_mul_f32 v8, v66, v96
	v_mul_f32_e32 v140, v79, v94
	v_fmac_f32_e32 v138, v78, v91
	s_delay_alu instid0(VALU_DEP_3) | instskip(NEXT) | instid1(VALU_DEP_4)
	v_fma_f32 v142, v79, v93, -v7
	v_fma_f32 v144, v65, v95, -v8
	s_wait_loadcnt 0x5
	v_dual_fmac_f32 v140, v80, v93 :: v_dual_mul_f32 v145, v67, v98
	s_wait_loadcnt_dscnt 0x402
	v_mul_f32_e32 v8, v70, v100
	s_delay_alu instid0(VALU_DEP_2) | instskip(NEXT) | instid1(VALU_DEP_2)
	v_dual_mul_f32 v100, v69, v100 :: v_dual_fmac_f32 v145, v68, v97
	v_fma_f32 v147, v69, v99, -v8
	s_delay_alu instid0(VALU_DEP_2)
	v_fmac_f32_e32 v100, v70, v99
	s_wait_loadcnt_dscnt 0x201
	v_mul_f32_e32 v8, v74, v104
	v_mul_f32_e32 v104, v73, v104
	v_mul_f32_e32 v143, v65, v96
	s_wait_loadcnt_dscnt 0x100
	v_mul_f32_e32 v65, v106, v84
	s_delay_alu instid0(VALU_DEP_3) | instskip(NEXT) | instid1(VALU_DEP_3)
	v_fmac_f32_e32 v104, v74, v103
	v_fmac_f32_e32 v143, v66, v95
	v_dual_mul_f32 v66, v106, v83 :: v_dual_mul_f32 v7, v68, v98
	v_mul_f32_e32 v99, v71, v102
	s_wait_alu 0xf1ff
	v_cndmask_b32_e64 v106, 0, 0xf00, s0
	s_delay_alu instid0(VALU_DEP_3) | instskip(SKIP_4) | instid1(VALU_DEP_3)
	v_fmac_f32_e32 v66, v105, v84
	v_fma_f32 v146, v67, v97, -v7
	v_mul_f32_e32 v7, v72, v102
	v_fmac_f32_e32 v99, v72, v101
	v_add3_u32 v5, 0, v106, v5
	v_fma_f32 v102, v71, v101, -v7
	v_fma_f32 v7, v105, v83, -v65
	s_wait_loadcnt 0x0
	v_mul_f32_e32 v65, v76, v108
	v_fma_f32 v101, v73, v103, -v8
	v_dual_sub_f32 v8, v82, v66 :: v_dual_mul_f32 v105, v75, v108
	v_sub_f32_e32 v7, v81, v7
	s_delay_alu instid0(VALU_DEP_4)
	v_fma_f32 v103, v75, v107, -v65
	ds_load_b64 v[65:66], v55
	v_fma_f32 v68, v82, 2.0, -v8
	v_fmac_f32_e32 v105, v76, v107
	v_fma_f32 v67, v81, 2.0, -v7
	ds_load_b64 v[69:70], v56
	ds_load_b64 v[71:72], v52
	;; [unrolled: 1-line block ×13, first 2 shown]
	global_wb scope:SCOPE_SE
	s_wait_dscnt 0x0
	s_barrier_signal -1
	s_barrier_wait -1
	global_inv scope:SCOPE_SE
	ds_store_2addr_b64 v49, v[67:68], v[7:8] offset1:240
	v_add_nc_u32_e32 v67, 0xf80, v49
	v_dual_sub_f32 v97, v69, v130 :: v_dual_lshlrev_b32 v108, 3, v12
	v_sub_f32_e32 v98, v70, v129
	s_delay_alu instid0(VALU_DEP_2) | instskip(NEXT) | instid1(VALU_DEP_2)
	v_fma_f32 v7, v69, 2.0, -v97
	v_fma_f32 v8, v70, 2.0, -v98
	v_dual_sub_f32 v95, v65, v127 :: v_dual_sub_f32 v96, v66, v128
	s_delay_alu instid0(VALU_DEP_1) | instskip(NEXT) | instid1(VALU_DEP_2)
	v_fma_f32 v65, v65, 2.0, -v95
	v_fma_f32 v66, v66, 2.0, -v96
	ds_store_2addr_b64 v5, v[65:66], v[95:96] offset1:240
	ds_store_2addr_b64 v67, v[7:8], v[97:98] offset1:240
	v_sub_f32_e32 v7, v81, v134
	v_dual_sub_f32 v65, v83, v132 :: v_dual_sub_f32 v66, v84, v131
	v_mul_u32_u24_e32 v5, 0xf00, v109
	v_sub_f32_e32 v8, v82, v133
	s_delay_alu instid0(VALU_DEP_4)
	v_fma_f32 v69, v81, 2.0, -v7
	v_add_nc_u32_e32 v81, 0, v113
	v_fma_f32 v67, v83, 2.0, -v65
	v_fma_f32 v68, v84, 2.0, -v66
	v_add3_u32 v5, 0, v5, v112
	v_sub_f32_e32 v83, v71, v136
	v_mul_u32_u24_e32 v95, 0xf00, v110
	v_add_nc_u32_e32 v96, 0x1e00, v81
	v_sub_f32_e32 v84, v72, v135
	v_fma_f32 v70, v82, 2.0, -v8
	v_sub_f32_e32 v81, v73, v139
	ds_store_2addr_b64 v5, v[67:68], v[65:66] offset1:240
	v_dual_sub_f32 v82, v74, v137 :: v_dual_add_nc_u32 v5, 0, v116
	v_fma_f32 v71, v71, 2.0, -v83
	v_fma_f32 v72, v72, 2.0, -v84
	v_add3_u32 v95, 0, v95, v115
	v_sub_f32_e32 v65, v75, v141
	v_mul_u32_u24_e32 v68, 0xf00, v111
	v_sub_f32_e32 v67, v77, v142
	ds_store_2addr_b64 v96, v[69:70], v[7:8] offset1:240
	ds_store_2addr_b64 v95, v[71:72], v[83:84] offset1:240
	v_fma_f32 v7, v73, 2.0, -v81
	v_fma_f32 v8, v74, 2.0, -v82
	v_dual_sub_f32 v66, v76, v138 :: v_dual_add_nc_u32 v5, 0x2d00, v5
	v_fma_f32 v69, v75, 2.0, -v65
	v_add3_u32 v83, 0, v68, v118
	v_dual_sub_f32 v68, v78, v140 :: v_dual_add_nc_u32 v75, 0, v119
	v_fma_f32 v71, v77, 2.0, -v67
	v_dual_sub_f32 v73, v79, v144 :: v_dual_sub_f32 v74, v80, v143
	v_mul_u32_u24_e32 v77, 0xf00, v114
	v_fma_f32 v70, v76, 2.0, -v66
	ds_store_2addr_b64 v5, v[7:8], v[81:82] offset1:240
	v_sub_f32_e32 v8, v86, v145
	v_fma_f32 v72, v78, 2.0, -v68
	v_add_nc_u32_e32 v78, 0x3c00, v75
	v_fma_f32 v75, v79, 2.0, -v73
	v_fma_f32 v76, v80, 2.0, -v74
	v_add3_u32 v77, 0, v77, v120
	ds_store_2addr_b64 v83, v[69:70], v[65:66] offset1:240
	ds_store_2addr_b64 v78, v[71:72], v[67:68] offset1:240
	;; [unrolled: 1-line block ×3, first 2 shown]
	v_fma_f32 v66, v86, 2.0, -v8
	v_add_nc_u32_e32 v86, 0, v126
	v_sub_f32_e32 v78, v94, v105
	v_lshrrev_b32_e32 v105, 24, v11
	v_sub_nc_u16 v11, v34, v16
	v_add_nc_u32_e32 v5, 0, v122
	v_dual_sub_f32 v67, v87, v147 :: v_dual_sub_f32 v68, v88, v100
	v_sub_f32_e32 v69, v89, v102
	s_delay_alu instid0(VALU_DEP_4) | instskip(NEXT) | instid1(VALU_DEP_4)
	v_and_b32_e32 v11, 0xffff, v11
	v_add_nc_u32_e32 v5, 0x4b00, v5
	v_mul_u32_u24_e32 v83, 0xf00, v117
	v_add_nc_u32_e32 v84, 0, v124
	v_sub_f32_e32 v70, v90, v99
	v_lshlrev_b32_e32 v107, 3, v11
	v_mul_lo_u16 v11, 0x1e0, v13
	v_mul_lo_u16 v13, 0x1e0, v14
	v_dual_sub_f32 v75, v91, v101 :: v_dual_sub_f32 v76, v92, v104
	v_sub_f32_e32 v77, v93, v103
	v_fma_f32 v71, v87, 2.0, -v67
	s_delay_alu instid0(VALU_DEP_4)
	v_sub_nc_u16 v12, v26, v13
	v_sub_f32_e32 v7, v85, v146
	v_fma_f32 v72, v88, 2.0, -v68
	v_fma_f32 v73, v89, 2.0, -v69
	;; [unrolled: 1-line block ×3, first 2 shown]
	v_and_b32_e32 v12, 0xffff, v12
	v_fma_f32 v65, v85, 2.0, -v7
	v_mul_u32_u24_e32 v85, 0xf00, v121
	v_add3_u32 v83, 0, v83, v123
	v_fma_f32 v79, v91, 2.0, -v75
	v_fma_f32 v80, v92, 2.0, -v76
	ds_store_2addr_b64 v5, v[65:66], v[7:8] offset1:240
	v_lshlrev_b64_e32 v[7:8], 3, v[20:21]
	v_add_nc_u32_e32 v5, 0x5a00, v84
	v_add3_u32 v65, 0, v85, v125
	v_fma_f32 v81, v93, 2.0, -v77
	v_fma_f32 v82, v94, 2.0, -v78
	v_add_nc_u32_e32 v66, 0x6900, v86
	v_add_co_u32 v7, s0, s4, v7
	s_wait_alu 0xf1ff
	v_add_co_ci_u32_e64 v8, s0, s5, v8, s0
	ds_store_2addr_b64 v83, v[71:72], v[67:68] offset1:240
	ds_store_2addr_b64 v5, v[73:74], v[69:70] offset1:240
	;; [unrolled: 1-line block ×4, first 2 shown]
	v_add_nc_u32_e32 v5, 0xffffffa0, v0
	v_cmp_gt_u32_e64 s0, 0x1e0, v46
	v_lshlrev_b64_e32 v[65:66], 3, v[22:23]
	v_lshrrev_b32_e32 v21, 24, v9
	v_lshrrev_b32_e32 v23, 24, v10
	global_wb scope:SCOPE_SE
	s_wait_dscnt 0x0
	s_wait_alu 0xf1ff
	v_cndmask_b32_e64 v5, v5, v46, s0
	s_barrier_signal -1
	v_add_co_u32 v9, s0, s4, v65
	s_wait_alu 0xf1ff
	v_add_co_ci_u32_e64 v10, s0, s5, v66, s0
	v_lshlrev_b64_e32 v[67:68], 3, v[5:6]
	s_barrier_wait -1
	global_inv scope:SCOPE_SE
	s_clause 0x1
	global_load_b64 v[77:78], v[7:8], off offset:3760
	global_load_b64 v[79:80], v[9:10], off offset:3760
	v_mul_lo_u16 v69, 0x1e0, v21
	v_add_co_u32 v65, s0, s4, v67
	s_wait_alu 0xf1ff
	v_add_co_ci_u32_e64 v66, s0, s5, v68, s0
	s_delay_alu instid0(VALU_DEP_3)
	v_sub_nc_u16 v67, v38, v69
	v_mul_lo_u16 v23, 0x1e0, v23
	v_mul_lo_u16 v16, 0x1e0, v105
	s_clause 0x3
	global_load_b64 v[81:82], v[65:66], off offset:3760
	global_load_b64 v[83:84], v[3:4], off offset:4016
	;; [unrolled: 1-line block ×4, first 2 shown]
	v_and_b32_e32 v65, 0xffff, v67
	v_sub_nc_u16 v23, v36, v23
	v_sub_nc_u16 v16, v32, v16
	global_load_b64 v[93:94], v107, s[4:5] offset:3760
	v_lshrrev_b32_e32 v13, 24, v15
	v_lshlrev_b32_e32 v106, 3, v65
	v_and_b32_e32 v23, 0xffff, v23
	v_and_b32_e32 v14, 0xffff, v16
	global_load_b64 v[15:16], v108, s[4:5] offset:3760
	v_sub_nc_u16 v11, v28, v11
	global_load_b64 v[89:90], v106, s[4:5] offset:3760
	v_lshlrev_b32_e32 v23, 3, v23
	v_lshlrev_b32_e32 v109, 3, v14
	;; [unrolled: 1-line block ×3, first 2 shown]
	v_and_b32_e32 v11, 0xffff, v11
	v_mul_lo_u16 v13, 0x1e0, v13
	s_clause 0x1
	global_load_b64 v[91:92], v23, s[4:5] offset:3760
	global_load_b64 v[95:96], v109, s[4:5] offset:3760
	v_cmp_lt_u32_e64 s0, 0x1df, v46
	v_lshlrev_b32_e32 v110, 3, v11
	s_clause 0x2
	global_load_b64 v[97:98], v110, s[4:5] offset:3760
	global_load_b64 v[99:100], v111, s[4:5] offset:3760
	global_load_b64 v[101:102], v[3:4], off offset:3760
	v_sub_nc_u16 v11, v24, v13
	v_lshlrev_b32_e32 v5, 3, v5
	v_mul_u32_u24_e32 v21, 0x1e00, v21
	v_lshlrev_b64_e32 v[36:37], 3, v[36:37]
	v_lshlrev_b64_e32 v[28:29], 3, v[28:29]
	v_and_b32_e32 v11, 0xffff, v11
	s_delay_alu instid0(VALU_DEP_4) | instskip(NEXT) | instid1(VALU_DEP_2)
	v_add3_u32 v21, 0, v21, v106
	v_lshlrev_b32_e32 v112, 3, v11
	global_load_b64 v[103:104], v112, s[4:5] offset:3760
	ds_load_2addr_stride64_b64 v[11:14], v49 offset0:32 offset1:34
	ds_load_2addr_stride64_b64 v[65:68], v49 offset0:36 offset1:38
	;; [unrolled: 1-line block ×3, first 2 shown]
	s_wait_loadcnt_dscnt 0xe02
	v_mul_f32_e32 v113, v78, v11
	s_wait_loadcnt_dscnt 0xb01
	v_mul_f32_e32 v117, v67, v84
	s_wait_loadcnt_dscnt 0x900
	v_dual_mul_f32 v119, v69, v86 :: v_dual_mul_f32 v120, v71, v88
	s_delay_alu instid0(VALU_DEP_1) | instskip(SKIP_1) | instid1(VALU_DEP_3)
	v_fmac_f32_e32 v119, v70, v85
	v_dual_mul_f32 v73, v78, v12 :: v_dual_mul_f32 v78, v80, v14
	v_fmac_f32_e32 v120, v72, v87
	v_mul_f32_e32 v115, v80, v13
	s_delay_alu instid0(VALU_DEP_3) | instskip(SKIP_4) | instid1(VALU_DEP_2)
	v_fma_f32 v114, v77, v11, -v73
	ds_load_2addr_stride64_b64 v[73:76], v49 offset0:44 offset1:46
	v_fma_f32 v116, v79, v13, -v78
	v_dual_mul_f32 v11, v66, v82 :: v_dual_mul_f32 v78, v72, v88
	v_mul_f32_e32 v82, v65, v82
	v_fma_f32 v122, v71, v87, -v78
	s_wait_loadcnt_dscnt 0x600
	s_delay_alu instid0(VALU_DEP_2) | instskip(SKIP_2) | instid1(VALU_DEP_2)
	v_dual_fmac_f32 v82, v66, v81 :: v_dual_mul_f32 v123, v73, v90
	s_wait_loadcnt 0x5
	v_mul_f32_e32 v125, v75, v92
	v_fmac_f32_e32 v123, v74, v89
	v_fmac_f32_e32 v113, v77, v12
	v_mul_f32_e32 v77, v68, v84
	v_fma_f32 v84, v65, v81, -v11
	v_fmac_f32_e32 v125, v76, v91
	v_fmac_f32_e32 v115, v79, v14
	ds_load_2addr_stride64_b64 v[11:14], v49 offset0:48 offset1:50
	v_fma_f32 v118, v67, v83, -v77
	v_mul_f32_e32 v77, v70, v86
	s_delay_alu instid0(VALU_DEP_1) | instskip(SKIP_2) | instid1(VALU_DEP_2)
	v_fma_f32 v121, v69, v85, -v77
	v_mul_f32_e32 v69, v74, v90
	v_mul_f32_e32 v77, v76, v92
	v_fma_f32 v124, v73, v89, -v69
	ds_load_2addr_stride64_b64 v[69:72], v49 offset0:56 offset1:58
	v_fma_f32 v126, v75, v91, -v77
	ds_load_2addr_stride64_b64 v[77:80], v49 offset1:30
	s_wait_dscnt 0x2
	v_mul_f32_e32 v74, v14, v16
	v_dual_mul_f32 v128, v13, v16 :: v_dual_mul_f32 v73, v12, v94
	v_mul_f32_e32 v127, v11, v94
	s_delay_alu instid0(VALU_DEP_3) | instskip(NEXT) | instid1(VALU_DEP_3)
	v_fma_f32 v130, v13, v15, -v74
	v_fmac_f32_e32 v128, v14, v15
	s_delay_alu instid0(VALU_DEP_4) | instskip(NEXT) | instid1(VALU_DEP_4)
	v_fma_f32 v129, v11, v93, -v73
	v_fmac_f32_e32 v127, v12, v93
	ds_load_b64 v[13:14], v56
	s_wait_loadcnt_dscnt 0x202
	v_mul_f32_e32 v16, v70, v100
	v_mul_f32_e32 v100, v69, v100
	s_delay_alu instid0(VALU_DEP_1)
	v_fmac_f32_e32 v100, v70, v99
	v_fmac_f32_e32 v117, v68, v83
	ds_load_2addr_stride64_b64 v[65:68], v49 offset0:52 offset1:54
	s_wait_dscnt 0x0
	v_mul_f32_e32 v11, v66, v96
	v_mul_f32_e32 v15, v68, v98
	v_dual_mul_f32 v98, v67, v98 :: v_dual_mul_f32 v131, v65, v96
	s_delay_alu instid0(VALU_DEP_3)
	v_fma_f32 v132, v65, v95, -v11
	ds_load_b64 v[11:12], v55
	v_fma_f32 v133, v67, v97, -v15
	v_fmac_f32_e32 v98, v68, v97
	v_fma_f32 v97, v69, v99, -v16
	ds_load_b64 v[15:16], v54
	v_fmac_f32_e32 v131, v66, v95
	s_wait_loadcnt 0x1
	v_mul_f32_e32 v65, v102, v80
	v_mul_f32_e32 v66, v102, v79
	ds_load_b64 v[73:74], v53
	ds_load_b64 v[75:76], v17
	s_wait_loadcnt 0x0
	v_mul_f32_e32 v67, v72, v104
	v_mul_f32_e32 v102, v71, v104
	v_fma_f32 v65, v101, v79, -v65
	v_fmac_f32_e32 v66, v101, v80
	s_wait_alu 0xf1ff
	v_cndmask_b32_e64 v101, 0, 0x1e00, s0
	v_fma_f32 v99, v71, v103, -v67
	v_dual_fmac_f32 v102, v72, v103 :: v_dual_sub_f32 v65, v77, v65
	v_dual_sub_f32 v66, v78, v66 :: v_dual_sub_f32 v71, v13, v116
	s_wait_dscnt 0x3
	v_dual_sub_f32 v72, v14, v115 :: v_dual_sub_f32 v67, v11, v114
	s_delay_alu instid0(VALU_DEP_3) | instskip(NEXT) | instid1(VALU_DEP_3)
	v_fma_f32 v69, v77, 2.0, -v65
	v_fma_f32 v70, v78, 2.0, -v66
	s_wait_dscnt 0x2
	v_dual_sub_f32 v68, v12, v113 :: v_dual_sub_f32 v77, v15, v84
	v_sub_f32_e32 v78, v16, v82
	ds_load_b64 v[79:80], v52
	ds_load_b64 v[81:82], v64
	;; [unrolled: 1-line block ×9, first 2 shown]
	v_fma_f32 v11, v11, 2.0, -v67
	v_fma_f32 v12, v12, 2.0, -v68
	;; [unrolled: 1-line block ×4, first 2 shown]
	global_wb scope:SCOPE_SE
	s_wait_dscnt 0x0
	s_barrier_signal -1
	s_barrier_wait -1
	global_inv scope:SCOPE_SE
	ds_store_b64 v49, v[69:70]
	ds_store_b64 v49, v[65:66] offset:3840
	ds_store_b64 v55, v[11:12]
	ds_store_b64 v55, v[67:68] offset:3840
	v_dual_sub_f32 v11, v73, v118 :: v_dual_sub_f32 v12, v74, v117
	ds_store_b64 v56, v[13:14]
	ds_store_b64 v56, v[71:72] offset:3840
	v_dual_sub_f32 v68, v82, v120 :: v_dual_sub_f32 v13, v79, v121
	v_sub_f32_e32 v67, v81, v122
	v_fma_f32 v15, v15, 2.0, -v77
	v_fma_f32 v16, v16, 2.0, -v78
	s_delay_alu instid0(VALU_DEP_4)
	v_fma_f32 v72, v82, 2.0, -v68
	v_add3_u32 v5, 0, v101, v5
	v_sub_f32_e32 v82, v96, v102
	v_sub_f32_e32 v14, v80, v119
	v_fma_f32 v65, v73, 2.0, -v11
	v_fma_f32 v66, v74, 2.0, -v12
	v_dual_sub_f32 v73, v83, v124 :: v_dual_sub_f32 v74, v84, v123
	v_fma_f32 v69, v79, 2.0, -v13
	v_fma_f32 v70, v80, 2.0, -v14
	v_add_nc_u32_e32 v101, 0x100, v49
	v_fma_f32 v71, v81, 2.0, -v67
	v_add_nc_u32_e32 v81, 0x2700, v49
	v_fma_f32 v79, v83, 2.0, -v73
	v_fma_f32 v80, v84, 2.0, -v74
	ds_store_b64 v5, v[15:16]
	ds_store_b64 v5, v[77:78] offset:3840
	ds_store_2addr_stride64_b64 v101, v[65:66], v[69:70] offset0:15 offset1:17
	ds_store_2addr_b64 v81, v[71:72], v[11:12] offset1:224
	ds_store_2addr_stride64_b64 v49, v[13:14], v[67:68] offset0:25 offset1:27
	v_dual_sub_f32 v11, v85, v126 :: v_dual_sub_f32 v12, v86, v125
	v_dual_sub_f32 v13, v87, v129 :: v_dual_sub_f32 v14, v88, v127
	ds_store_b64 v21, v[79:80]
	ds_store_b64 v21, v[73:74] offset:3840
	v_fma_f32 v15, v85, 2.0, -v11
	v_sub_f32_e32 v65, v75, v130
	v_fma_f32 v16, v86, 2.0, -v12
	v_sub_f32_e32 v66, v76, v128
	v_dual_sub_f32 v71, v89, v132 :: v_dual_sub_f32 v72, v90, v131
	v_dual_sub_f32 v73, v91, v133 :: v_dual_sub_f32 v74, v92, v98
	v_add_nc_u32_e32 v5, 0, v23
	v_mul_u32_u24_e32 v23, 0x1e00, v105
	v_fma_f32 v67, v87, 2.0, -v13
	v_fma_f32 v68, v88, 2.0, -v14
	v_dual_sub_f32 v79, v93, v97 :: v_dual_sub_f32 v80, v94, v100
	v_add_nc_u32_e32 v21, 0, v107
	v_fma_f32 v69, v75, 2.0, -v65
	v_fma_f32 v70, v76, 2.0, -v66
	;; [unrolled: 1-line block ×6, first 2 shown]
	v_add_nc_u32_e32 v87, 0, v108
	ds_store_b64 v5, v[15:16] offset:15360
	ds_store_b64 v5, v[11:12] offset:19200
	;; [unrolled: 1-line block ×4, first 2 shown]
	v_add3_u32 v5, 0, v23, v109
	v_add_nc_u32_e32 v11, 0, v110
	v_fma_f32 v83, v93, 2.0, -v79
	v_fma_f32 v84, v94, 2.0, -v80
	v_add_nc_u32_e32 v12, 0, v111
	ds_store_b64 v87, v[69:70] offset:15360
	ds_store_b64 v87, v[65:66] offset:19200
	ds_store_b64 v5, v[75:76]
	ds_store_b64 v5, v[71:72] offset:3840
	ds_store_b64 v11, v[77:78] offset:23040
	;; [unrolled: 1-line block ×5, first 2 shown]
	v_lshlrev_b64_e32 v[11:12], 3, v[46:47]
	v_sub_f32_e32 v81, v95, v99
	v_fma_f32 v86, v96, 2.0, -v82
	v_add_nc_u32_e32 v5, 0, v112
	s_delay_alu instid0(VALU_DEP_4)
	v_add_co_u32 v13, s0, s4, v11
	s_wait_alu 0xf1ff
	v_add_co_ci_u32_e64 v14, s0, s5, v12, s0
	v_lshlrev_b64_e32 v[11:12], 3, v[44:45]
	v_fma_f32 v85, v95, 2.0, -v81
	ds_store_b64 v5, v[85:86] offset:23040
	ds_store_b64 v5, v[81:82] offset:26880
	v_add_co_u32 v15, s0, s4, v11
	s_wait_alu 0xf1ff
	v_add_co_ci_u32_e64 v16, s0, s5, v12, s0
	v_add_co_u32 v42, s0, s4, v42
	global_wb scope:SCOPE_SE
	s_wait_dscnt 0x0
	s_barrier_signal -1
	s_barrier_wait -1
	global_inv scope:SCOPE_SE
	s_clause 0x1
	global_load_b64 v[77:78], v[7:8], off offset:7600
	global_load_b64 v[79:80], v[9:10], off offset:7600
	s_wait_alu 0xf1ff
	v_add_co_ci_u32_e64 v43, s0, s5, v43, s0
	v_add_nc_u32_e32 v5, 0xfffffc40, v38
	v_cmp_gt_u32_e64 s0, 0x3c0, v38
	global_load_b64 v[81:82], v[13:14], off offset:7600
	v_lshlrev_b64_e32 v[11:12], 3, v[40:41]
	s_clause 0x1
	global_load_b64 v[40:41], v[15:16], off offset:7600
	global_load_b64 v[83:84], v[42:43], off offset:7600
	s_wait_alu 0xf1ff
	v_cndmask_b32_e64 v5, v5, v38, s0
	v_add_co_u32 v11, s0, s4, v11
	s_delay_alu instid0(VALU_DEP_2) | instskip(SKIP_2) | instid1(VALU_DEP_2)
	v_lshlrev_b64_e32 v[44:45], 3, v[5:6]
	s_wait_alu 0xf1ff
	v_add_co_ci_u32_e64 v12, s0, s5, v12, s0
	v_add_co_u32 v44, s0, s4, v44
	s_wait_alu 0xf1ff
	s_delay_alu instid0(VALU_DEP_3)
	v_add_co_ci_u32_e64 v45, s0, s5, v45, s0
	s_clause 0x9
	global_load_b64 v[85:86], v[11:12], off offset:7600
	global_load_b64 v[87:88], v[44:45], off offset:7600
	;; [unrolled: 1-line block ×10, first 2 shown]
	ds_load_2addr_stride64_b64 v[44:47], v49 offset0:32 offset1:34
	ds_load_2addr_stride64_b64 v[65:68], v49 offset0:36 offset1:38
	ds_load_2addr_stride64_b64 v[69:72], v49 offset0:40 offset1:42
	ds_load_2addr_stride64_b64 v[73:76], v49 offset0:44 offset1:46
	v_cmp_lt_u32_e64 s0, 0x3bf, v38
	s_wait_loadcnt_dscnt 0xe03
	v_mul_f32_e32 v6, v78, v45
	v_mul_f32_e32 v21, v78, v44
	s_wait_loadcnt 0xd
	v_mul_f32_e32 v23, v80, v47
	v_mul_f32_e32 v105, v80, v46
	v_fma_f32 v6, v77, v44, -v6
	s_wait_loadcnt_dscnt 0xc02
	v_dual_mul_f32 v44, v66, v82 :: v_dual_fmac_f32 v21, v77, v45
	v_fma_f32 v23, v79, v46, -v23
	v_dual_fmac_f32 v105, v79, v47 :: v_dual_mul_f32 v106, v65, v82
	s_delay_alu instid0(VALU_DEP_3)
	v_fma_f32 v107, v65, v81, -v44
	s_wait_loadcnt 0xb
	v_mul_f32_e32 v65, v68, v41
	v_mul_f32_e32 v108, v67, v41
	ds_load_2addr_stride64_b64 v[44:47], v49 offset0:48 offset1:50
	v_fmac_f32_e32 v106, v66, v81
	s_wait_loadcnt_dscnt 0xa02
	v_mul_f32_e32 v41, v70, v84
	v_fma_f32 v109, v67, v40, -v65
	v_fmac_f32_e32 v108, v68, v40
	ds_load_2addr_stride64_b64 v[65:68], v49 offset0:52 offset1:54
	v_mul_f32_e32 v110, v69, v84
	s_wait_loadcnt 0x9
	v_mul_f32_e32 v40, v72, v86
	v_mul_f32_e32 v112, v71, v86
	v_fma_f32 v111, v69, v83, -v41
	s_wait_loadcnt_dscnt 0x802
	v_mul_f32_e32 v41, v74, v88
	v_fmac_f32_e32 v110, v70, v83
	v_fma_f32 v113, v71, v85, -v40
	v_fmac_f32_e32 v112, v72, v85
	ds_load_2addr_stride64_b64 v[69:72], v49 offset1:30
	ds_load_2addr_stride64_b64 v[77:80], v49 offset0:56 offset1:58
	s_wait_loadcnt 0x7
	v_mul_f32_e32 v40, v76, v90
	v_fma_f32 v115, v73, v87, -v41
	v_mul_f32_e32 v114, v73, v88
	s_wait_loadcnt_dscnt 0x603
	v_dual_mul_f32 v116, v75, v90 :: v_dual_mul_f32 v41, v45, v92
	v_fma_f32 v118, v75, v89, -v40
	s_wait_loadcnt 0x5
	v_dual_mul_f32 v40, v47, v94 :: v_dual_mul_f32 v117, v44, v92
	v_mul_f32_e32 v120, v46, v94
	v_fma_f32 v119, v44, v91, -v41
	s_wait_loadcnt_dscnt 0x402
	v_mul_f32_e32 v41, v66, v96
	v_mul_f32_e32 v96, v65, v96
	v_fma_f32 v121, v46, v93, -v40
	s_wait_loadcnt 0x3
	v_dual_mul_f32 v40, v68, v98 :: v_dual_fmac_f32 v117, v45, v91
	v_fma_f32 v122, v65, v95, -v41
	v_dual_fmac_f32 v96, v66, v95 :: v_dual_mul_f32 v95, v67, v98
	s_delay_alu instid0(VALU_DEP_3)
	v_fma_f32 v98, v67, v97, -v40
	s_wait_loadcnt_dscnt 0x201
	v_mul_f32_e32 v40, v100, v72
	s_wait_loadcnt_dscnt 0x100
	v_dual_mul_f32 v45, v100, v71 :: v_dual_mul_f32 v44, v78, v102
	v_fmac_f32_e32 v120, v47, v93
	v_fmac_f32_e32 v95, v68, v97
	v_fma_f32 v46, v99, v71, -v40
	ds_load_b64 v[40:41], v55
	v_fmac_f32_e32 v45, v99, v72
	v_mul_f32_e32 v97, v77, v102
	v_fma_f32 v99, v77, v101, -v44
	s_wait_loadcnt 0x0
	v_mul_f32_e32 v47, v80, v104
	v_mul_f32_e32 v100, v79, v104
	v_dual_sub_f32 v44, v69, v46 :: v_dual_sub_f32 v45, v70, v45
	v_fmac_f32_e32 v114, v74, v87
	v_fmac_f32_e32 v116, v76, v89
	;; [unrolled: 1-line block ×3, first 2 shown]
	v_fma_f32 v101, v79, v103, -v47
	v_fmac_f32_e32 v100, v80, v103
	v_fma_f32 v46, v69, 2.0, -v44
	v_fma_f32 v47, v70, 2.0, -v45
	ds_load_b64 v[65:66], v56
	ds_load_b64 v[67:68], v52
	;; [unrolled: 1-line block ×13, first 2 shown]
	global_wb scope:SCOPE_SE
	s_wait_dscnt 0x0
	s_barrier_signal -1
	s_barrier_wait -1
	v_dual_sub_f32 v83, v40, v6 :: v_dual_sub_f32 v84, v41, v21
	global_inv scope:SCOPE_SE
	ds_store_2addr_stride64_b64 v49, v[46:47], v[44:45] offset1:15
	s_wait_alu 0xf1ff
	v_cndmask_b32_e64 v21, 0, 0x3c00, s0
	v_fma_f32 v40, v40, 2.0, -v83
	v_fma_f32 v41, v41, 2.0, -v84
	v_dual_sub_f32 v44, v65, v23 :: v_dual_sub_f32 v45, v66, v105
	v_lshlrev_b32_e32 v23, 3, v5
	ds_store_2addr_stride64_b64 v55, v[40:41], v[83:84] offset1:15
	v_dual_sub_f32 v40, v71, v107 :: v_dual_sub_f32 v41, v72, v106
	v_fma_f32 v46, v65, 2.0, -v44
	v_sub_f32_e32 v65, v69, v109
	v_fma_f32 v47, v66, 2.0, -v45
	v_dual_sub_f32 v66, v70, v108 :: v_dual_sub_f32 v83, v67, v111
	v_dual_sub_f32 v84, v68, v110 :: v_dual_sub_f32 v93, v73, v113
	v_sub_f32_e32 v94, v74, v112
	v_fma_f32 v71, v71, 2.0, -v40
	v_fma_f32 v72, v72, 2.0, -v41
	;; [unrolled: 1-line block ×8, first 2 shown]
	ds_store_2addr_stride64_b64 v56, v[46:47], v[44:45] offset1:15
	ds_store_2addr_stride64_b64 v54, v[71:72], v[40:41] offset1:15
	;; [unrolled: 1-line block ×5, first 2 shown]
	v_dual_sub_f32 v40, v75, v115 :: v_dual_sub_f32 v41, v76, v114
	v_dual_sub_f32 v44, v77, v118 :: v_dual_sub_f32 v45, v78, v116
	;; [unrolled: 1-line block ×5, first 2 shown]
	v_fma_f32 v65, v75, 2.0, -v40
	v_fma_f32 v66, v76, 2.0, -v41
	v_dual_sub_f32 v75, v87, v98 :: v_dual_sub_f32 v76, v88, v95
	v_dual_sub_f32 v5, v89, v99 :: v_dual_sub_f32 v6, v90, v97
	;; [unrolled: 1-line block ×3, first 2 shown]
	v_add3_u32 v21, 0, v21, v23
	v_fma_f32 v67, v77, 2.0, -v44
	v_fma_f32 v68, v78, 2.0, -v45
	;; [unrolled: 1-line block ×14, first 2 shown]
	ds_store_2addr_stride64_b64 v21, v[65:66], v[40:41] offset1:15
	ds_store_2addr_stride64_b64 v49, v[67:68], v[69:70] offset0:31 offset1:33
	ds_store_2addr_stride64_b64 v49, v[46:47], v[71:72] offset0:48 offset1:50
	;; [unrolled: 1-line block ×7, first 2 shown]
	v_lshlrev_b64_e32 v[5:6], 3, v[38:39]
	v_lshlrev_b64_e32 v[44:45], 3, v[24:25]
	global_wb scope:SCOPE_SE
	s_wait_dscnt 0x0
	s_barrier_signal -1
	s_barrier_wait -1
	global_inv scope:SCOPE_SE
	v_add_co_u32 v38, s0, s4, v5
	s_wait_alu 0xf1ff
	v_add_co_ci_u32_e64 v39, s0, s5, v6, s0
	v_lshlrev_b64_e32 v[5:6], 3, v[34:35]
	v_add_co_u32 v36, s0, s4, v36
	s_wait_alu 0xf1ff
	v_add_co_ci_u32_e64 v37, s0, s5, v37, s0
	s_clause 0x2
	global_load_b64 v[40:41], v[7:8], off offset:15280
	global_load_b64 v[93:94], v[9:10], off offset:15280
	;; [unrolled: 1-line block ×3, first 2 shown]
	v_add_co_u32 v34, s0, s4, v5
	s_wait_alu 0xf1ff
	v_add_co_ci_u32_e64 v35, s0, s5, v6, s0
	v_lshlrev_b64_e32 v[5:6], 3, v[32:33]
	v_add_co_u32 v32, s0, s4, v30
	s_wait_alu 0xf1ff
	v_add_co_ci_u32_e64 v33, s0, s5, v31, s0
	s_clause 0x3
	global_load_b64 v[97:98], v[15:16], off offset:15280
	global_load_b64 v[99:100], v[42:43], off offset:15280
	;; [unrolled: 1-line block ×4, first 2 shown]
	v_add_co_u32 v30, s0, s4, v5
	s_wait_alu 0xf1ff
	v_add_co_ci_u32_e64 v31, s0, s5, v6, s0
	v_lshlrev_b64_e32 v[5:6], 3, v[26:27]
	v_add_co_u32 v28, s0, s4, v28
	s_wait_alu 0xf1ff
	v_add_co_ci_u32_e64 v29, s0, s5, v29, s0
	s_clause 0x4
	global_load_b64 v[26:27], v[36:37], off offset:15280
	global_load_b64 v[105:106], v[34:35], off offset:15280
	global_load_b64 v[107:108], v[32:33], off offset:15280
	global_load_b64 v[109:110], v[30:31], off offset:15280
	global_load_b64 v[111:112], v[28:29], off offset:15280
	v_add_co_u32 v23, s0, s4, v5
	s_wait_alu 0xf1ff
	v_add_co_ci_u32_e64 v24, s0, s5, v6, s0
	v_add_co_u32 v5, s0, s4, v44
	s_wait_alu 0xf1ff
	v_add_co_ci_u32_e64 v6, s0, s5, v45, s0
	s_clause 0x2
	global_load_b64 v[113:114], v[23:24], off offset:15280
	global_load_b64 v[115:116], v[5:6], off offset:15280
	;; [unrolled: 1-line block ×3, first 2 shown]
	ds_load_2addr_stride64_b64 v[44:47], v49 offset0:32 offset1:34
	ds_load_2addr_stride64_b64 v[65:68], v49 offset0:36 offset1:38
	;; [unrolled: 1-line block ×7, first 2 shown]
	ds_load_2addr_stride64_b64 v[89:92], v49 offset1:30
	ds_load_b64 v[119:120], v55
	ds_load_b64 v[121:122], v56
	;; [unrolled: 1-line block ×10, first 2 shown]
	v_cmp_ne_u32_e64 s0, 0, v0
	s_wait_loadcnt_dscnt 0xd11
	v_mul_f32_e32 v25, v94, v47
	v_mul_f32_e32 v94, v94, v46
	s_delay_alu instid0(VALU_DEP_2) | instskip(NEXT) | instid1(VALU_DEP_2)
	v_fma_f32 v150, v93, v46, -v25
	v_fmac_f32_e32 v94, v93, v47
	s_wait_loadcnt_dscnt 0xb10
	v_mul_f32_e32 v140, v68, v98
	v_mul_f32_e32 v98, v67, v98
	s_wait_loadcnt_dscnt 0x90f
	v_mul_f32_e32 v142, v72, v102
	v_mul_f32_e32 v102, v71, v102
	s_delay_alu instid0(VALU_DEP_3) | instskip(NEXT) | instid1(VALU_DEP_2)
	v_fmac_f32_e32 v98, v68, v97
	v_dual_fmac_f32 v102, v72, v101 :: v_dual_mul_f32 v139, v41, v44
	s_wait_loadcnt_dscnt 0x70e
	v_mul_f32_e32 v144, v76, v27
	s_wait_loadcnt_dscnt 0x50d
	v_mul_f32_e32 v146, v80, v108
	s_wait_loadcnt_dscnt 0x40c
	v_dual_mul_f32 v108, v79, v108 :: v_dual_mul_f32 v147, v82, v110
	v_mul_f32_e32 v110, v81, v110
	s_wait_loadcnt 0x3
	v_mul_f32_e32 v148, v84, v112
	v_mul_f32_e32 v112, v83, v112
	v_fmac_f32_e32 v108, v80, v107
	v_dual_mul_f32 v27, v75, v27 :: v_dual_fmac_f32 v110, v82, v109
	v_mul_f32_e32 v141, v70, v100
	s_wait_loadcnt_dscnt 0x20b
	v_dual_mul_f32 v100, v69, v100 :: v_dual_mul_f32 v149, v86, v114
	v_mul_f32_e32 v114, v85, v114
	v_fmac_f32_e32 v27, v76, v26
	s_delay_alu instid0(VALU_DEP_3)
	v_dual_fmac_f32 v139, v40, v45 :: v_dual_fmac_f32 v100, v70, v99
	v_mul_f32_e32 v21, v41, v45
	s_wait_loadcnt_dscnt 0xa
	v_mul_f32_e32 v45, v118, v91
	v_dual_fmac_f32 v112, v84, v111 :: v_dual_mul_f32 v145, v78, v106
	v_mul_f32_e32 v106, v77, v106
	v_dual_fmac_f32 v114, v86, v113 :: v_dual_mul_f32 v93, v87, v116
	s_delay_alu instid0(VALU_DEP_4)
	v_fmac_f32_e32 v45, v117, v92
	s_wait_dscnt 0x7
	v_sub_f32_e32 v80, v124, v100
	v_fma_f32 v21, v40, v44, -v21
	v_mul_f32_e32 v44, v118, v92
	v_fmac_f32_e32 v106, v78, v105
	v_mul_f32_e32 v41, v66, v96
	v_dual_mul_f32 v96, v65, v96 :: v_dual_fmac_f32 v93, v88, v115
	v_mul_f32_e32 v143, v74, v104
	v_mul_f32_e32 v104, v73, v104
	;; [unrolled: 1-line block ×3, first 2 shown]
	v_fma_f32 v116, v65, v95, -v41
	v_fmac_f32_e32 v96, v66, v95
	v_fma_f32 v95, v67, v97, -v140
	v_fma_f32 v97, v69, v99, -v141
	;; [unrolled: 1-line block ×4, first 2 shown]
	v_fmac_f32_e32 v104, v74, v103
	v_fma_f32 v103, v75, v26, -v144
	v_fma_f32 v25, v117, v91, -v44
	v_sub_f32_e32 v26, v90, v45
	ds_load_b64 v[44:45], v60
	ds_load_b64 v[46:47], v59
	;; [unrolled: 1-line block ×4, first 2 shown]
	v_dual_sub_f32 v69, v119, v21 :: v_dual_sub_f32 v70, v120, v139
	v_sub_f32_e32 v25, v89, v25
	v_fma_f32 v41, v90, 2.0, -v26
	global_wb scope:SCOPE_SE
	s_wait_dscnt 0x0
	s_barrier_signal -1
	s_barrier_wait -1
	global_inv scope:SCOPE_SE
	v_sub_f32_e32 v71, v135, v116
	v_sub_f32_e32 v72, v136, v96
	;; [unrolled: 1-line block ×3, first 2 shown]
	v_fma_f32 v91, v83, v111, -v148
	v_fma_f32 v84, v124, 2.0, -v80
	v_fma_f32 v75, v135, 2.0, -v71
	;; [unrolled: 1-line block ×4, first 2 shown]
	v_fma_f32 v92, v85, v113, -v149
	v_sub_f32_e32 v86, v47, v112
	v_fma_f32 v118, v77, v105, -v145
	v_sub_f32_e32 v90, v68, v93
	v_fma_f32 v105, v79, v107, -v146
	v_fma_f32 v107, v81, v109, -v147
	;; [unrolled: 1-line block ×3, first 2 shown]
	v_fma_f32 v40, v89, 2.0, -v25
	v_sub_f32_e32 v77, v133, v95
	v_sub_f32_e32 v79, v123, v97
	;; [unrolled: 1-line block ×4, first 2 shown]
	ds_store_2addr_stride64_b64 v49, v[40:41], v[25:26] offset1:30
	v_sub_f32_e32 v25, v121, v150
	v_sub_f32_e32 v26, v122, v94
	v_fma_f32 v40, v119, 2.0, -v69
	v_fma_f32 v41, v120, 2.0, -v70
	;; [unrolled: 1-line block ×6, first 2 shown]
	ds_store_2addr_stride64_b64 v55, v[40:41], v[69:70] offset1:30
	ds_store_2addr_stride64_b64 v56, v[73:74], v[25:26] offset1:30
	;; [unrolled: 1-line block ×5, first 2 shown]
	v_dual_sub_f32 v25, v125, v99 :: v_dual_sub_f32 v26, v126, v102
	v_dual_sub_f32 v40, v127, v101 :: v_dual_sub_f32 v41, v128, v104
	v_sub_f32_e32 v55, v129, v103
	v_dual_sub_f32 v56, v130, v27 :: v_dual_sub_f32 v75, v131, v118
	v_dual_sub_f32 v76, v132, v106 :: v_dual_sub_f32 v77, v137, v105
	v_sub_f32_e32 v78, v138, v108
	v_fma_f32 v69, v125, 2.0, -v25
	v_fma_f32 v70, v126, 2.0, -v26
	v_dual_sub_f32 v79, v44, v107 :: v_dual_sub_f32 v80, v45, v110
	v_dual_sub_f32 v88, v66, v114 :: v_dual_sub_f32 v89, v67, v109
	v_fma_f32 v71, v127, 2.0, -v40
	v_fma_f32 v72, v128, 2.0, -v41
	;; [unrolled: 1-line block ×16, first 2 shown]
	ds_store_2addr_stride64_b64 v64, v[69:70], v[25:26] offset1:30
	ds_store_2addr_stride64_b64 v63, v[71:72], v[40:41] offset1:30
	;; [unrolled: 1-line block ×9, first 2 shown]
	global_wb scope:SCOPE_SE
	s_wait_dscnt 0x0
	s_barrier_signal -1
	s_barrier_wait -1
	global_inv scope:SCOPE_SE
	ds_load_b64 v[40:41], v49
	v_sub_nc_u32_e32 v21, 0, v48
                                        ; implicit-def: $vgpr26
                                        ; implicit-def: $vgpr27
	s_and_saveexec_b32 s1, s0
	s_wait_alu 0xfffe
	s_xor_b32 s0, exec_lo, s1
	s_cbranch_execz .LBB0_15
; %bb.14:
	global_load_b64 v[3:4], v[3:4], off offset:30640
	ds_load_b64 v[25:26], v21 offset:30720
	s_wait_dscnt 0x0
	v_sub_f32_e32 v27, v40, v25
	v_add_f32_e32 v44, v26, v41
	v_sub_f32_e32 v26, v41, v26
	v_add_f32_e32 v25, v25, v40
	s_delay_alu instid0(VALU_DEP_3) | instskip(SKIP_1) | instid1(VALU_DEP_1)
	v_dual_mul_f32 v41, 0.5, v27 :: v_dual_mul_f32 v40, 0.5, v44
	s_wait_loadcnt 0x0
	v_dual_mul_f32 v26, 0.5, v26 :: v_dual_mul_f32 v27, v4, v41
	s_delay_alu instid0(VALU_DEP_1) | instskip(SKIP_1) | instid1(VALU_DEP_3)
	v_fma_f32 v44, v40, v4, v26
	v_fma_f32 v4, v40, v4, -v26
	v_fma_f32 v45, 0.5, v25, v27
	v_fma_f32 v25, v25, 0.5, -v27
	s_delay_alu instid0(VALU_DEP_4) | instskip(NEXT) | instid1(VALU_DEP_4)
	v_fma_f32 v27, -v3, v41, v44
	v_fma_f32 v26, -v3, v41, v4
	s_delay_alu instid0(VALU_DEP_4) | instskip(NEXT) | instid1(VALU_DEP_4)
	v_fmac_f32_e32 v45, v3, v40
	v_fma_f32 v25, -v3, v40, v25
                                        ; implicit-def: $vgpr40_vgpr41
	ds_store_b32 v49, v45
.LBB0_15:
	s_wait_alu 0xfffe
	s_or_saveexec_b32 s0, s0
	v_mul_i32_i24_e32 v4, 0xffffffb8, v20
	v_mul_i32_i24_e32 v3, 0xffffffb8, v22
	s_wait_alu 0xfffe
	s_xor_b32 exec_lo, exec_lo, s0
	s_cbranch_execz .LBB0_17
; %bb.16:
	s_wait_dscnt 0x0
	v_dual_mov_b32 v27, 0 :: v_dual_add_f32 v22, v40, v41
	s_delay_alu instid0(VALU_DEP_1)
	v_dual_sub_f32 v25, v40, v41 :: v_dual_mov_b32 v26, v27
	ds_load_b32 v20, v27 offset:15364
	s_wait_dscnt 0x0
	v_xor_b32_e32 v20, 0x80000000, v20
	ds_store_b32 v49, v22
	ds_store_b32 v27, v20 offset:15364
.LBB0_17:
	s_or_b32 exec_lo, exec_lo, s0
	s_clause 0x3
	global_load_b64 v[7:8], v[7:8], off offset:30640
	global_load_b64 v[9:10], v[9:10], off offset:30640
	global_load_b64 v[13:14], v[13:14], off offset:30640
	global_load_b64 v[15:16], v[15:16], off offset:30640
	s_wait_dscnt 0x0
	s_clause 0x1
	global_load_b64 v[40:41], v[42:43], off offset:30640
	global_load_b64 v[11:12], v[11:12], off offset:30640
	v_add_nc_u32_e32 v4, v51, v4
	ds_store_b32 v49, v27 offset:4
	ds_store_b64 v21, v[25:26] offset:30720
	ds_load_b64 v[25:26], v4
	ds_load_b64 v[42:43], v21 offset:29696
	global_load_b64 v[38:39], v[38:39], off offset:30640
	s_wait_dscnt 0x0
	v_add_f32_e32 v27, v25, v42
	v_sub_f32_e32 v20, v25, v42
	v_add_f32_e32 v22, v26, v43
	s_delay_alu instid0(VALU_DEP_2) | instskip(NEXT) | instid1(VALU_DEP_2)
	v_mul_f32_e32 v20, 0.5, v20
	v_mul_f32_e32 v22, 0.5, v22
	s_wait_loadcnt 0x6
	s_delay_alu instid0(VALU_DEP_2) | instskip(NEXT) | instid1(VALU_DEP_1)
	v_mul_f32_e32 v42, v8, v20
	v_fma_f32 v25, 0.5, v27, v42
	v_sub_f32_e32 v26, v26, v43
	v_fma_f32 v27, v27, 0.5, -v42
	s_delay_alu instid0(VALU_DEP_3) | instskip(NEXT) | instid1(VALU_DEP_3)
	v_fmac_f32_e32 v25, v7, v22
	v_mul_f32_e32 v26, 0.5, v26
	s_delay_alu instid0(VALU_DEP_1) | instskip(SKIP_1) | instid1(VALU_DEP_2)
	v_fma_f32 v43, v22, v8, v26
	v_fma_f32 v8, v22, v8, -v26
	v_fma_f32 v26, -v7, v20, v43
	s_delay_alu instid0(VALU_DEP_2)
	v_fma_f32 v8, -v7, v20, v8
	v_fma_f32 v7, -v7, v22, v27
	v_add_nc_u32_e32 v20, v50, v3
	ds_store_b64 v4, v[25:26]
	ds_store_b64 v21, v[7:8] offset:29696
	ds_load_b64 v[3:4], v20
	ds_load_b64 v[7:8], v21 offset:28672
	global_load_b64 v[25:26], v[36:37], off offset:30640
	s_wait_dscnt 0x0
	v_dual_sub_f32 v22, v3, v7 :: v_dual_add_f32 v27, v4, v8
	v_dual_sub_f32 v4, v4, v8 :: v_dual_add_f32 v7, v3, v7
	s_delay_alu instid0(VALU_DEP_2) | instskip(NEXT) | instid1(VALU_DEP_3)
	v_mul_f32_e32 v8, 0.5, v22
	v_mul_f32_e32 v22, 0.5, v27
	s_delay_alu instid0(VALU_DEP_3) | instskip(SKIP_1) | instid1(VALU_DEP_3)
	v_mul_f32_e32 v4, 0.5, v4
	s_wait_loadcnt 0x6
	v_mul_f32_e32 v27, v10, v8
	s_delay_alu instid0(VALU_DEP_2) | instskip(SKIP_1) | instid1(VALU_DEP_3)
	v_fma_f32 v36, v22, v10, v4
	v_fma_f32 v10, v22, v10, -v4
	v_fma_f32 v3, 0.5, v7, v27
	v_fma_f32 v7, v7, 0.5, -v27
	s_delay_alu instid0(VALU_DEP_4) | instskip(NEXT) | instid1(VALU_DEP_4)
	v_fma_f32 v4, -v9, v8, v36
	v_fma_f32 v8, -v9, v8, v10
	s_delay_alu instid0(VALU_DEP_4) | instskip(NEXT) | instid1(VALU_DEP_4)
	v_fmac_f32_e32 v3, v9, v22
	v_fma_f32 v7, -v9, v22, v7
	ds_store_b64 v20, v[3:4]
	ds_store_b64 v21, v[7:8] offset:28672
	ds_load_b64 v[3:4], v54
	ds_load_b64 v[7:8], v21 offset:27648
	global_load_b64 v[9:10], v[34:35], off offset:30640
	s_wait_dscnt 0x0
	v_sub_f32_e32 v20, v3, v7
	v_add_f32_e32 v22, v4, v8
	v_dual_sub_f32 v4, v4, v8 :: v_dual_add_f32 v7, v3, v7
	s_delay_alu instid0(VALU_DEP_3) | instskip(NEXT) | instid1(VALU_DEP_3)
	v_mul_f32_e32 v8, 0.5, v20
	v_mul_f32_e32 v20, 0.5, v22
	s_delay_alu instid0(VALU_DEP_3) | instskip(SKIP_1) | instid1(VALU_DEP_3)
	v_mul_f32_e32 v4, 0.5, v4
	s_wait_loadcnt 0x6
	v_mul_f32_e32 v22, v14, v8
	s_delay_alu instid0(VALU_DEP_2) | instskip(SKIP_1) | instid1(VALU_DEP_3)
	v_fma_f32 v27, v20, v14, v4
	v_fma_f32 v14, v20, v14, -v4
	v_fma_f32 v3, 0.5, v7, v22
	v_fma_f32 v7, v7, 0.5, -v22
	s_delay_alu instid0(VALU_DEP_4) | instskip(NEXT) | instid1(VALU_DEP_4)
	v_fma_f32 v4, -v13, v8, v27
	v_fma_f32 v8, -v13, v8, v14
	s_delay_alu instid0(VALU_DEP_4) | instskip(NEXT) | instid1(VALU_DEP_4)
	v_fmac_f32_e32 v3, v13, v20
	v_fma_f32 v7, -v13, v20, v7
	ds_store_b64 v54, v[3:4]
	ds_store_b64 v21, v[7:8] offset:27648
	ds_load_b64 v[3:4], v53
	ds_load_b64 v[7:8], v21 offset:26624
	global_load_b64 v[13:14], v[32:33], off offset:30640
	s_wait_dscnt 0x0
	v_sub_f32_e32 v20, v3, v7
	v_add_f32_e32 v22, v4, v8
	v_dual_sub_f32 v4, v4, v8 :: v_dual_add_f32 v7, v3, v7
	s_delay_alu instid0(VALU_DEP_3) | instskip(NEXT) | instid1(VALU_DEP_3)
	;; [unrolled: 27-line block ×3, first 2 shown]
	v_mul_f32_e32 v16, 0.5, v20
	v_mul_f32_e32 v20, 0.5, v22
	s_delay_alu instid0(VALU_DEP_3) | instskip(SKIP_1) | instid1(VALU_DEP_3)
	v_mul_f32_e32 v4, 0.5, v4
	s_wait_loadcnt 0x6
	v_mul_f32_e32 v22, v41, v16
	s_delay_alu instid0(VALU_DEP_2) | instskip(SKIP_1) | instid1(VALU_DEP_3)
	v_fma_f32 v27, v20, v41, v4
	v_fma_f32 v30, v20, v41, -v4
	v_fma_f32 v3, 0.5, v15, v22
	v_fma_f32 v15, v15, 0.5, -v22
	s_delay_alu instid0(VALU_DEP_4) | instskip(NEXT) | instid1(VALU_DEP_4)
	v_fma_f32 v4, -v40, v16, v27
	v_fma_f32 v16, -v40, v16, v30
	global_load_b64 v[27:28], v[28:29], off offset:30640
	v_fmac_f32_e32 v3, v40, v20
	v_fma_f32 v15, -v40, v20, v15
	ds_store_b64 v52, v[3:4]
	ds_store_b64 v21, v[15:16] offset:25600
	ds_load_b64 v[3:4], v64
	ds_load_b64 v[15:16], v21 offset:24576
	s_wait_dscnt 0x0
	v_sub_f32_e32 v20, v3, v15
	v_add_f32_e32 v22, v4, v16
	v_dual_sub_f32 v4, v4, v16 :: v_dual_add_f32 v15, v3, v15
	s_delay_alu instid0(VALU_DEP_3) | instskip(NEXT) | instid1(VALU_DEP_3)
	v_mul_f32_e32 v16, 0.5, v20
	v_mul_f32_e32 v20, 0.5, v22
	s_delay_alu instid0(VALU_DEP_3) | instskip(SKIP_1) | instid1(VALU_DEP_3)
	v_mul_f32_e32 v4, 0.5, v4
	s_wait_loadcnt 0x6
	v_mul_f32_e32 v22, v12, v16
	s_delay_alu instid0(VALU_DEP_2) | instskip(SKIP_1) | instid1(VALU_DEP_3)
	v_fma_f32 v29, v20, v12, v4
	v_fma_f32 v12, v20, v12, -v4
	v_fma_f32 v3, 0.5, v15, v22
	v_fma_f32 v15, v15, 0.5, -v22
	s_delay_alu instid0(VALU_DEP_4) | instskip(NEXT) | instid1(VALU_DEP_4)
	v_fma_f32 v4, -v11, v16, v29
	v_fma_f32 v12, -v11, v16, v12
	s_delay_alu instid0(VALU_DEP_4) | instskip(NEXT) | instid1(VALU_DEP_4)
	v_fmac_f32_e32 v3, v11, v20
	v_fma_f32 v11, -v11, v20, v15
	ds_store_b64 v64, v[3:4]
	ds_store_b64 v21, v[11:12] offset:24576
	global_load_b64 v[3:4], v[23:24], off offset:30640
	ds_load_b64 v[11:12], v63
	ds_load_b64 v[15:16], v21 offset:23552
	global_load_b64 v[5:6], v[5:6], off offset:30640
	s_wait_dscnt 0x0
	v_sub_f32_e32 v20, v11, v15
	v_add_f32_e32 v22, v12, v16
	v_dual_sub_f32 v12, v12, v16 :: v_dual_add_f32 v15, v11, v15
	s_delay_alu instid0(VALU_DEP_3) | instskip(NEXT) | instid1(VALU_DEP_3)
	v_mul_f32_e32 v16, 0.5, v20
	v_mul_f32_e32 v20, 0.5, v22
	s_delay_alu instid0(VALU_DEP_3) | instskip(SKIP_1) | instid1(VALU_DEP_3)
	v_mul_f32_e32 v12, 0.5, v12
	s_wait_loadcnt 0x7
	v_mul_f32_e32 v22, v39, v16
	s_delay_alu instid0(VALU_DEP_2) | instskip(SKIP_1) | instid1(VALU_DEP_3)
	v_fma_f32 v23, v20, v39, v12
	v_fma_f32 v24, v20, v39, -v12
	v_fma_f32 v11, 0.5, v15, v22
	v_fma_f32 v15, v15, 0.5, -v22
	s_delay_alu instid0(VALU_DEP_4) | instskip(NEXT) | instid1(VALU_DEP_4)
	v_fma_f32 v12, -v38, v16, v23
	v_fma_f32 v16, -v38, v16, v24
	s_delay_alu instid0(VALU_DEP_4) | instskip(NEXT) | instid1(VALU_DEP_4)
	v_fmac_f32_e32 v11, v38, v20
	v_fma_f32 v15, -v38, v20, v15
	ds_store_b64 v63, v[11:12]
	ds_store_b64 v21, v[15:16] offset:23552
	ds_load_b64 v[11:12], v62
	ds_load_b64 v[15:16], v21 offset:22528
	s_wait_dscnt 0x0
	v_sub_f32_e32 v20, v11, v15
	v_add_f32_e32 v22, v12, v16
	v_dual_sub_f32 v12, v12, v16 :: v_dual_add_f32 v15, v11, v15
	s_delay_alu instid0(VALU_DEP_3) | instskip(NEXT) | instid1(VALU_DEP_3)
	v_mul_f32_e32 v16, 0.5, v20
	v_mul_f32_e32 v20, 0.5, v22
	s_delay_alu instid0(VALU_DEP_3) | instskip(SKIP_1) | instid1(VALU_DEP_3)
	v_mul_f32_e32 v12, 0.5, v12
	s_wait_loadcnt 0x6
	v_mul_f32_e32 v22, v26, v16
	s_delay_alu instid0(VALU_DEP_2) | instskip(SKIP_1) | instid1(VALU_DEP_3)
	v_fma_f32 v23, v20, v26, v12
	v_fma_f32 v24, v20, v26, -v12
	v_fma_f32 v11, 0.5, v15, v22
	v_fma_f32 v15, v15, 0.5, -v22
	s_delay_alu instid0(VALU_DEP_4) | instskip(NEXT) | instid1(VALU_DEP_4)
	v_fma_f32 v12, -v25, v16, v23
	v_fma_f32 v16, -v25, v16, v24
	s_delay_alu instid0(VALU_DEP_4) | instskip(NEXT) | instid1(VALU_DEP_4)
	v_fmac_f32_e32 v11, v25, v20
	v_fma_f32 v15, -v25, v20, v15
	ds_store_b64 v62, v[11:12]
	ds_store_b64 v21, v[15:16] offset:22528
	ds_load_b64 v[11:12], v61
	ds_load_b64 v[15:16], v21 offset:21504
	;; [unrolled: 26-line block ×3, first 2 shown]
	s_wait_dscnt 0x0
	v_dual_sub_f32 v15, v9, v11 :: v_dual_add_f32 v16, v10, v12
	v_dual_sub_f32 v10, v10, v12 :: v_dual_add_f32 v11, v9, v11
	s_delay_alu instid0(VALU_DEP_2) | instskip(NEXT) | instid1(VALU_DEP_2)
	v_dual_mul_f32 v12, 0.5, v15 :: v_dual_mul_f32 v15, 0.5, v16
	v_mul_f32_e32 v10, 0.5, v10
	s_wait_loadcnt 0x4
	s_delay_alu instid0(VALU_DEP_2) | instskip(NEXT) | instid1(VALU_DEP_2)
	v_mul_f32_e32 v16, v14, v12
	v_fma_f32 v20, v15, v14, v10
	v_fma_f32 v14, v15, v14, -v10
	s_delay_alu instid0(VALU_DEP_3) | instskip(SKIP_1) | instid1(VALU_DEP_4)
	v_fma_f32 v9, 0.5, v11, v16
	v_fma_f32 v11, v11, 0.5, -v16
	v_fma_f32 v10, -v13, v12, v20
	s_delay_alu instid0(VALU_DEP_4) | instskip(NEXT) | instid1(VALU_DEP_4)
	v_fma_f32 v12, -v13, v12, v14
	v_fmac_f32_e32 v9, v13, v15
	s_delay_alu instid0(VALU_DEP_4)
	v_fma_f32 v11, -v13, v15, v11
	ds_store_b64 v17, v[9:10]
	ds_store_b64 v21, v[11:12] offset:20480
	ds_load_b64 v[9:10], v60
	ds_load_b64 v[11:12], v21 offset:19456
	s_wait_dscnt 0x0
	v_dual_sub_f32 v13, v9, v11 :: v_dual_add_f32 v14, v10, v12
	v_dual_sub_f32 v10, v10, v12 :: v_dual_add_f32 v9, v9, v11
	s_delay_alu instid0(VALU_DEP_2) | instskip(SKIP_1) | instid1(VALU_DEP_1)
	v_dual_mul_f32 v12, 0.5, v13 :: v_dual_mul_f32 v13, 0.5, v14
	s_wait_loadcnt 0x3
	v_dual_mul_f32 v10, 0.5, v10 :: v_dual_mul_f32 v11, v8, v12
	s_delay_alu instid0(VALU_DEP_1) | instskip(SKIP_1) | instid1(VALU_DEP_3)
	v_fma_f32 v14, v13, v8, v10
	v_fma_f32 v10, v13, v8, -v10
	v_fma_f32 v8, 0.5, v9, v11
	v_fma_f32 v15, v9, 0.5, -v11
	s_delay_alu instid0(VALU_DEP_4) | instskip(NEXT) | instid1(VALU_DEP_4)
	v_fma_f32 v9, -v7, v12, v14
	v_fma_f32 v11, -v7, v12, v10
	s_delay_alu instid0(VALU_DEP_4) | instskip(NEXT) | instid1(VALU_DEP_4)
	v_fmac_f32_e32 v8, v7, v13
	v_fma_f32 v10, -v7, v13, v15
	ds_store_b64 v60, v[8:9]
	ds_store_b64 v21, v[10:11] offset:19456
	ds_load_b64 v[7:8], v59
	ds_load_b64 v[9:10], v21 offset:18432
	s_wait_dscnt 0x0
	v_dual_sub_f32 v11, v7, v9 :: v_dual_add_f32 v12, v8, v10
	v_dual_sub_f32 v8, v8, v10 :: v_dual_add_f32 v9, v7, v9
	s_delay_alu instid0(VALU_DEP_2) | instskip(NEXT) | instid1(VALU_DEP_2)
	v_dual_mul_f32 v10, 0.5, v11 :: v_dual_mul_f32 v11, 0.5, v12
	v_mul_f32_e32 v8, 0.5, v8
	s_wait_loadcnt 0x2
	s_delay_alu instid0(VALU_DEP_2) | instskip(NEXT) | instid1(VALU_DEP_2)
	v_mul_f32_e32 v12, v28, v10
	v_fma_f32 v13, v11, v28, v8
	v_fma_f32 v14, v11, v28, -v8
	s_delay_alu instid0(VALU_DEP_3) | instskip(SKIP_1) | instid1(VALU_DEP_4)
	v_fma_f32 v7, 0.5, v9, v12
	v_fma_f32 v9, v9, 0.5, -v12
	v_fma_f32 v8, -v27, v10, v13
	s_delay_alu instid0(VALU_DEP_4) | instskip(NEXT) | instid1(VALU_DEP_4)
	v_fma_f32 v10, -v27, v10, v14
	v_fmac_f32_e32 v7, v27, v11
	s_delay_alu instid0(VALU_DEP_4)
	v_fma_f32 v9, -v27, v11, v9
	ds_store_b64 v59, v[7:8]
	ds_store_b64 v21, v[9:10] offset:18432
	ds_load_b64 v[7:8], v58
	ds_load_b64 v[9:10], v21 offset:17408
	s_wait_dscnt 0x0
	v_dual_sub_f32 v11, v7, v9 :: v_dual_add_f32 v12, v8, v10
	v_dual_sub_f32 v8, v8, v10 :: v_dual_add_f32 v9, v7, v9
	s_delay_alu instid0(VALU_DEP_2) | instskip(NEXT) | instid1(VALU_DEP_2)
	v_dual_mul_f32 v10, 0.5, v11 :: v_dual_mul_f32 v11, 0.5, v12
	v_mul_f32_e32 v8, 0.5, v8
	s_wait_loadcnt 0x1
	s_delay_alu instid0(VALU_DEP_2) | instskip(NEXT) | instid1(VALU_DEP_2)
	v_mul_f32_e32 v12, v4, v10
	v_fma_f32 v13, v11, v4, v8
	v_fma_f32 v4, v11, v4, -v8
	s_delay_alu instid0(VALU_DEP_3) | instskip(SKIP_1) | instid1(VALU_DEP_4)
	v_fma_f32 v7, 0.5, v9, v12
	v_fma_f32 v9, v9, 0.5, -v12
	v_fma_f32 v8, -v3, v10, v13
	s_delay_alu instid0(VALU_DEP_4) | instskip(NEXT) | instid1(VALU_DEP_4)
	v_fma_f32 v4, -v3, v10, v4
	v_fmac_f32_e32 v7, v3, v11
	s_delay_alu instid0(VALU_DEP_4)
	;; [unrolled: 24-line block ×3, first 2 shown]
	v_fma_f32 v5, -v5, v9, v7
	ds_store_b64 v57, v[3:4]
	ds_store_b64 v21, v[5:6] offset:16384
	global_wb scope:SCOPE_SE
	s_wait_dscnt 0x0
	s_barrier_signal -1
	s_barrier_wait -1
	global_inv scope:SCOPE_SE
	s_and_saveexec_b32 s0, vcc_lo
	s_cbranch_execz .LBB0_20
; %bb.18:
	v_or_b32_e32 v32, 0x1c00, v48
	ds_load_2addr_stride64_b64 v[5:8], v49 offset1:2
	ds_load_2addr_stride64_b64 v[9:12], v49 offset0:4 offset1:6
	ds_load_2addr_stride64_b64 v[13:16], v49 offset0:8 offset1:10
	;; [unrolled: 1-line block ×3, first 2 shown]
	v_add_co_u32 v3, vcc_lo, s8, v18
	s_wait_alu 0xfffd
	v_add_co_ci_u32_e32 v4, vcc_lo, s9, v19, vcc_lo
	v_add_nc_u32_e32 v17, 0, v32
	s_delay_alu instid0(VALU_DEP_3)
	v_add_co_u32 v1, vcc_lo, v3, v1
	ds_load_2addr_stride64_b64 v[24:27], v49 offset0:18 offset1:20
	ds_load_2addr_stride64_b64 v[28:31], v49 offset0:22 offset1:24
	ds_load_b64 v[17:18], v17
	s_wait_alu 0xfffd
	v_add_co_ci_u32_e32 v2, vcc_lo, v4, v2, vcc_lo
	v_or_b32_e32 v33, 0x3c00, v48
	v_or_b32_e32 v44, 0x5c00, v48
	s_wait_dscnt 0x6
	s_clause 0x1
	global_store_b64 v[1:2], v[5:6], off
	global_store_b64 v[1:2], v[7:8], off offset:1024
	s_wait_dscnt 0x5
	s_clause 0x1
	global_store_b64 v[1:2], v[9:10], off offset:2048
	global_store_b64 v[1:2], v[11:12], off offset:3072
	v_add_nc_u32_e32 v11, 0, v33
	v_add_nc_u32_e32 v12, 0, v44
	v_add_co_u32 v9, vcc_lo, v3, v32
	s_wait_dscnt 0x4
	s_clause 0x1
	global_store_b64 v[1:2], v[13:14], off offset:4096
	global_store_b64 v[1:2], v[15:16], off offset:5120
	s_wait_dscnt 0x3
	global_store_b64 v[1:2], v[20:21], off offset:6144
	s_wait_alu 0xfffd
	v_add_co_ci_u32_e32 v10, vcc_lo, 0, v4, vcc_lo
	ds_load_2addr_stride64_b64 v[5:8], v49 offset0:26 offset1:28
	ds_load_b64 v[36:37], v11
	ds_load_b64 v[38:39], v12
	ds_load_b64 v[40:41], v49 offset:29696
	v_add_co_u32 v42, vcc_lo, v3, v33
	s_wait_dscnt 0x4
	global_store_b64 v[9:10], v[17:18], off
	ds_load_2addr_stride64_b64 v[9:12], v49 offset0:32 offset1:34
	ds_load_2addr_stride64_b64 v[13:16], v49 offset0:36 offset1:38
	s_clause 0x3
	global_store_b64 v[1:2], v[22:23], off offset:8192
	global_store_b64 v[1:2], v[24:25], off offset:9216
	;; [unrolled: 1-line block ×4, first 2 shown]
	ds_load_2addr_stride64_b64 v[17:20], v49 offset0:40 offset1:42
	ds_load_2addr_stride64_b64 v[21:24], v49 offset0:44 offset1:48
	;; [unrolled: 1-line block ×4, first 2 shown]
	s_wait_alu 0xfffd
	v_add_co_ci_u32_e32 v43, vcc_lo, 0, v4, vcc_lo
	global_store_b64 v[1:2], v[30:31], off offset:12288
	s_wait_dscnt 0x9
	s_clause 0x1
	global_store_b64 v[1:2], v[5:6], off offset:13312
	global_store_b64 v[1:2], v[7:8], off offset:14336
	s_wait_dscnt 0x8
	global_store_b64 v[42:43], v[36:37], off
	v_add_co_u32 v5, vcc_lo, v3, v44
	s_wait_alu 0xfffd
	v_add_co_ci_u32_e32 v6, vcc_lo, 0, v4, vcc_lo
	v_cmp_eq_u32_e32 vcc_lo, 0x7f, v0
	s_wait_dscnt 0x5
	s_clause 0x1
	global_store_b64 v[1:2], v[9:10], off offset:16384
	global_store_b64 v[1:2], v[11:12], off offset:17408
	s_wait_dscnt 0x4
	s_clause 0x1
	global_store_b64 v[1:2], v[13:14], off offset:18432
	global_store_b64 v[1:2], v[15:16], off offset:19456
	s_wait_dscnt 0x3
	s_clause 0x1
	global_store_b64 v[1:2], v[17:18], off offset:20480
	global_store_b64 v[1:2], v[19:20], off offset:21504
	s_wait_dscnt 0x2
	s_clause 0x2
	global_store_b64 v[1:2], v[21:22], off offset:22528
	global_store_b64 v[5:6], v[38:39], off
	global_store_b64 v[1:2], v[23:24], off offset:24576
	s_wait_dscnt 0x1
	s_clause 0x1
	global_store_b64 v[1:2], v[25:26], off offset:25600
	global_store_b64 v[1:2], v[27:28], off offset:26624
	s_wait_dscnt 0x0
	s_clause 0x2
	global_store_b64 v[1:2], v[32:33], off offset:27648
	global_store_b64 v[1:2], v[34:35], off offset:28672
	;; [unrolled: 1-line block ×3, first 2 shown]
	s_and_b32 exec_lo, exec_lo, vcc_lo
	s_cbranch_execz .LBB0_20
; %bb.19:
	v_mov_b32_e32 v0, 0
	ds_load_b64 v[0:1], v0 offset:30720
	s_wait_dscnt 0x0
	global_store_b64 v[3:4], v[0:1], off offset:30720
.LBB0_20:
	s_nop 0
	s_sendmsg sendmsg(MSG_DEALLOC_VGPRS)
	s_endpgm
	.section	.rodata,"a",@progbits
	.p2align	6, 0x0
	.amdhsa_kernel fft_rtc_fwd_len3840_factors_10_6_2_2_2_2_2_2_wgs_128_tpt_128_halfLds_sp_ip_CI_unitstride_sbrr_R2C_dirReg
		.amdhsa_group_segment_fixed_size 0
		.amdhsa_private_segment_fixed_size 0
		.amdhsa_kernarg_size 88
		.amdhsa_user_sgpr_count 2
		.amdhsa_user_sgpr_dispatch_ptr 0
		.amdhsa_user_sgpr_queue_ptr 0
		.amdhsa_user_sgpr_kernarg_segment_ptr 1
		.amdhsa_user_sgpr_dispatch_id 0
		.amdhsa_user_sgpr_private_segment_size 0
		.amdhsa_wavefront_size32 1
		.amdhsa_uses_dynamic_stack 0
		.amdhsa_enable_private_segment 0
		.amdhsa_system_sgpr_workgroup_id_x 1
		.amdhsa_system_sgpr_workgroup_id_y 0
		.amdhsa_system_sgpr_workgroup_id_z 0
		.amdhsa_system_sgpr_workgroup_info 0
		.amdhsa_system_vgpr_workitem_id 0
		.amdhsa_next_free_vgpr 162
		.amdhsa_next_free_sgpr 32
		.amdhsa_reserve_vcc 1
		.amdhsa_float_round_mode_32 0
		.amdhsa_float_round_mode_16_64 0
		.amdhsa_float_denorm_mode_32 3
		.amdhsa_float_denorm_mode_16_64 3
		.amdhsa_fp16_overflow 0
		.amdhsa_workgroup_processor_mode 1
		.amdhsa_memory_ordered 1
		.amdhsa_forward_progress 0
		.amdhsa_round_robin_scheduling 0
		.amdhsa_exception_fp_ieee_invalid_op 0
		.amdhsa_exception_fp_denorm_src 0
		.amdhsa_exception_fp_ieee_div_zero 0
		.amdhsa_exception_fp_ieee_overflow 0
		.amdhsa_exception_fp_ieee_underflow 0
		.amdhsa_exception_fp_ieee_inexact 0
		.amdhsa_exception_int_div_zero 0
	.end_amdhsa_kernel
	.text
.Lfunc_end0:
	.size	fft_rtc_fwd_len3840_factors_10_6_2_2_2_2_2_2_wgs_128_tpt_128_halfLds_sp_ip_CI_unitstride_sbrr_R2C_dirReg, .Lfunc_end0-fft_rtc_fwd_len3840_factors_10_6_2_2_2_2_2_2_wgs_128_tpt_128_halfLds_sp_ip_CI_unitstride_sbrr_R2C_dirReg
                                        ; -- End function
	.section	.AMDGPU.csdata,"",@progbits
; Kernel info:
; codeLenInByte = 23432
; NumSgprs: 34
; NumVgprs: 162
; ScratchSize: 0
; MemoryBound: 0
; FloatMode: 240
; IeeeMode: 1
; LDSByteSize: 0 bytes/workgroup (compile time only)
; SGPRBlocks: 4
; VGPRBlocks: 20
; NumSGPRsForWavesPerEU: 34
; NumVGPRsForWavesPerEU: 162
; Occupancy: 9
; WaveLimiterHint : 1
; COMPUTE_PGM_RSRC2:SCRATCH_EN: 0
; COMPUTE_PGM_RSRC2:USER_SGPR: 2
; COMPUTE_PGM_RSRC2:TRAP_HANDLER: 0
; COMPUTE_PGM_RSRC2:TGID_X_EN: 1
; COMPUTE_PGM_RSRC2:TGID_Y_EN: 0
; COMPUTE_PGM_RSRC2:TGID_Z_EN: 0
; COMPUTE_PGM_RSRC2:TIDIG_COMP_CNT: 0
	.text
	.p2alignl 7, 3214868480
	.fill 96, 4, 3214868480
	.type	__hip_cuid_84d8cd64177d26ce,@object ; @__hip_cuid_84d8cd64177d26ce
	.section	.bss,"aw",@nobits
	.globl	__hip_cuid_84d8cd64177d26ce
__hip_cuid_84d8cd64177d26ce:
	.byte	0                               ; 0x0
	.size	__hip_cuid_84d8cd64177d26ce, 1

	.ident	"AMD clang version 19.0.0git (https://github.com/RadeonOpenCompute/llvm-project roc-6.4.0 25133 c7fe45cf4b819c5991fe208aaa96edf142730f1d)"
	.section	".note.GNU-stack","",@progbits
	.addrsig
	.addrsig_sym __hip_cuid_84d8cd64177d26ce
	.amdgpu_metadata
---
amdhsa.kernels:
  - .args:
      - .actual_access:  read_only
        .address_space:  global
        .offset:         0
        .size:           8
        .value_kind:     global_buffer
      - .offset:         8
        .size:           8
        .value_kind:     by_value
      - .actual_access:  read_only
        .address_space:  global
        .offset:         16
        .size:           8
        .value_kind:     global_buffer
      - .actual_access:  read_only
        .address_space:  global
        .offset:         24
        .size:           8
        .value_kind:     global_buffer
      - .offset:         32
        .size:           8
        .value_kind:     by_value
      - .actual_access:  read_only
        .address_space:  global
        .offset:         40
        .size:           8
        .value_kind:     global_buffer
      - .actual_access:  read_only
        .address_space:  global
        .offset:         48
        .size:           8
        .value_kind:     global_buffer
      - .offset:         56
        .size:           4
        .value_kind:     by_value
      - .actual_access:  read_only
        .address_space:  global
        .offset:         64
        .size:           8
        .value_kind:     global_buffer
      - .actual_access:  read_only
        .address_space:  global
        .offset:         72
        .size:           8
        .value_kind:     global_buffer
      - .address_space:  global
        .offset:         80
        .size:           8
        .value_kind:     global_buffer
    .group_segment_fixed_size: 0
    .kernarg_segment_align: 8
    .kernarg_segment_size: 88
    .language:       OpenCL C
    .language_version:
      - 2
      - 0
    .max_flat_workgroup_size: 128
    .name:           fft_rtc_fwd_len3840_factors_10_6_2_2_2_2_2_2_wgs_128_tpt_128_halfLds_sp_ip_CI_unitstride_sbrr_R2C_dirReg
    .private_segment_fixed_size: 0
    .sgpr_count:     34
    .sgpr_spill_count: 0
    .symbol:         fft_rtc_fwd_len3840_factors_10_6_2_2_2_2_2_2_wgs_128_tpt_128_halfLds_sp_ip_CI_unitstride_sbrr_R2C_dirReg.kd
    .uniform_work_group_size: 1
    .uses_dynamic_stack: false
    .vgpr_count:     162
    .vgpr_spill_count: 0
    .wavefront_size: 32
    .workgroup_processor_mode: 1
amdhsa.target:   amdgcn-amd-amdhsa--gfx1201
amdhsa.version:
  - 1
  - 2
...

	.end_amdgpu_metadata
